;; amdgpu-corpus repo=ROCm/rocFFT kind=compiled arch=gfx1100 opt=O3
	.text
	.amdgcn_target "amdgcn-amd-amdhsa--gfx1100"
	.amdhsa_code_object_version 6
	.protected	fft_rtc_back_len272_factors_16_17_wgs_119_tpt_17_halfLds_dp_ip_CI_unitstride_sbrr_R2C_dirReg ; -- Begin function fft_rtc_back_len272_factors_16_17_wgs_119_tpt_17_halfLds_dp_ip_CI_unitstride_sbrr_R2C_dirReg
	.globl	fft_rtc_back_len272_factors_16_17_wgs_119_tpt_17_halfLds_dp_ip_CI_unitstride_sbrr_R2C_dirReg
	.p2align	8
	.type	fft_rtc_back_len272_factors_16_17_wgs_119_tpt_17_halfLds_dp_ip_CI_unitstride_sbrr_R2C_dirReg,@function
fft_rtc_back_len272_factors_16_17_wgs_119_tpt_17_halfLds_dp_ip_CI_unitstride_sbrr_R2C_dirReg: ; @fft_rtc_back_len272_factors_16_17_wgs_119_tpt_17_halfLds_dp_ip_CI_unitstride_sbrr_R2C_dirReg
; %bb.0:
	s_load_b128 s[4:7], s[0:1], 0x0
	v_mul_u32_u24_e32 v1, 0xf10, v0
	s_clause 0x1
	s_load_b64 s[8:9], s[0:1], 0x50
	s_load_b64 s[10:11], s[0:1], 0x18
	v_mov_b32_e32 v3, 0
	v_lshrrev_b32_e32 v4, 16, v1
	s_delay_alu instid0(VALU_DEP_1) | instskip(SKIP_3) | instid1(VALU_DEP_1)
	v_mad_u64_u32 v[1:2], null, s15, 7, v[4:5]
	v_mov_b32_e32 v5, 0
	v_mov_b32_e32 v6, 0
	;; [unrolled: 1-line block ×4, first 2 shown]
	s_waitcnt lgkmcnt(0)
	v_cmp_lt_u64_e64 s2, s[6:7], 2
	v_mov_b32_e32 v9, v1
	s_delay_alu instid0(VALU_DEP_2)
	s_and_b32 vcc_lo, exec_lo, s2
	s_cbranch_vccnz .LBB0_8
; %bb.1:
	s_load_b64 s[2:3], s[0:1], 0x10
	v_dual_mov_b32 v5, 0 :: v_dual_mov_b32 v8, v2
	s_add_u32 s12, s10, 8
	v_dual_mov_b32 v6, 0 :: v_dual_mov_b32 v7, v1
	s_addc_u32 s13, s11, 0
	s_mov_b64 s[16:17], 1
	s_waitcnt lgkmcnt(0)
	s_add_u32 s14, s2, 8
	s_addc_u32 s15, s3, 0
.LBB0_2:                                ; =>This Inner Loop Header: Depth=1
	s_load_b64 s[18:19], s[14:15], 0x0
                                        ; implicit-def: $vgpr9_vgpr10
	s_mov_b32 s2, exec_lo
	s_waitcnt lgkmcnt(0)
	v_or_b32_e32 v4, s19, v8
	s_delay_alu instid0(VALU_DEP_1)
	v_cmpx_ne_u64_e32 0, v[3:4]
	s_xor_b32 s3, exec_lo, s2
	s_cbranch_execz .LBB0_4
; %bb.3:                                ;   in Loop: Header=BB0_2 Depth=1
	v_cvt_f32_u32_e32 v2, s18
	v_cvt_f32_u32_e32 v4, s19
	s_sub_u32 s2, 0, s18
	s_subb_u32 s20, 0, s19
	s_delay_alu instid0(VALU_DEP_1) | instskip(NEXT) | instid1(VALU_DEP_1)
	v_fmac_f32_e32 v2, 0x4f800000, v4
	v_rcp_f32_e32 v2, v2
	s_waitcnt_depctr 0xfff
	v_mul_f32_e32 v2, 0x5f7ffffc, v2
	s_delay_alu instid0(VALU_DEP_1) | instskip(NEXT) | instid1(VALU_DEP_1)
	v_mul_f32_e32 v4, 0x2f800000, v2
	v_trunc_f32_e32 v4, v4
	s_delay_alu instid0(VALU_DEP_1) | instskip(SKIP_1) | instid1(VALU_DEP_2)
	v_fmac_f32_e32 v2, 0xcf800000, v4
	v_cvt_u32_f32_e32 v4, v4
	v_cvt_u32_f32_e32 v2, v2
	s_delay_alu instid0(VALU_DEP_2) | instskip(NEXT) | instid1(VALU_DEP_2)
	v_mul_lo_u32 v9, s2, v4
	v_mul_hi_u32 v10, s2, v2
	v_mul_lo_u32 v11, s20, v2
	s_delay_alu instid0(VALU_DEP_2) | instskip(SKIP_1) | instid1(VALU_DEP_2)
	v_add_nc_u32_e32 v9, v10, v9
	v_mul_lo_u32 v10, s2, v2
	v_add_nc_u32_e32 v9, v9, v11
	s_delay_alu instid0(VALU_DEP_2) | instskip(NEXT) | instid1(VALU_DEP_2)
	v_mul_hi_u32 v11, v2, v10
	v_mul_lo_u32 v12, v2, v9
	v_mul_hi_u32 v13, v2, v9
	v_mul_hi_u32 v14, v4, v10
	v_mul_lo_u32 v10, v4, v10
	v_mul_hi_u32 v15, v4, v9
	v_mul_lo_u32 v9, v4, v9
	v_add_co_u32 v11, vcc_lo, v11, v12
	v_add_co_ci_u32_e32 v12, vcc_lo, 0, v13, vcc_lo
	s_delay_alu instid0(VALU_DEP_2) | instskip(NEXT) | instid1(VALU_DEP_2)
	v_add_co_u32 v10, vcc_lo, v11, v10
	v_add_co_ci_u32_e32 v10, vcc_lo, v12, v14, vcc_lo
	v_add_co_ci_u32_e32 v11, vcc_lo, 0, v15, vcc_lo
	s_delay_alu instid0(VALU_DEP_2) | instskip(NEXT) | instid1(VALU_DEP_2)
	v_add_co_u32 v9, vcc_lo, v10, v9
	v_add_co_ci_u32_e32 v10, vcc_lo, 0, v11, vcc_lo
	s_delay_alu instid0(VALU_DEP_2) | instskip(NEXT) | instid1(VALU_DEP_2)
	v_add_co_u32 v2, vcc_lo, v2, v9
	v_add_co_ci_u32_e32 v4, vcc_lo, v4, v10, vcc_lo
	s_delay_alu instid0(VALU_DEP_2) | instskip(SKIP_1) | instid1(VALU_DEP_3)
	v_mul_hi_u32 v9, s2, v2
	v_mul_lo_u32 v11, s20, v2
	v_mul_lo_u32 v10, s2, v4
	s_delay_alu instid0(VALU_DEP_1) | instskip(SKIP_1) | instid1(VALU_DEP_2)
	v_add_nc_u32_e32 v9, v9, v10
	v_mul_lo_u32 v10, s2, v2
	v_add_nc_u32_e32 v9, v9, v11
	s_delay_alu instid0(VALU_DEP_2) | instskip(NEXT) | instid1(VALU_DEP_2)
	v_mul_hi_u32 v11, v2, v10
	v_mul_lo_u32 v12, v2, v9
	v_mul_hi_u32 v13, v2, v9
	v_mul_hi_u32 v14, v4, v10
	v_mul_lo_u32 v10, v4, v10
	v_mul_hi_u32 v15, v4, v9
	v_mul_lo_u32 v9, v4, v9
	v_add_co_u32 v11, vcc_lo, v11, v12
	v_add_co_ci_u32_e32 v12, vcc_lo, 0, v13, vcc_lo
	s_delay_alu instid0(VALU_DEP_2) | instskip(NEXT) | instid1(VALU_DEP_2)
	v_add_co_u32 v10, vcc_lo, v11, v10
	v_add_co_ci_u32_e32 v10, vcc_lo, v12, v14, vcc_lo
	v_add_co_ci_u32_e32 v11, vcc_lo, 0, v15, vcc_lo
	s_delay_alu instid0(VALU_DEP_2) | instskip(NEXT) | instid1(VALU_DEP_2)
	v_add_co_u32 v9, vcc_lo, v10, v9
	v_add_co_ci_u32_e32 v10, vcc_lo, 0, v11, vcc_lo
	s_delay_alu instid0(VALU_DEP_2) | instskip(NEXT) | instid1(VALU_DEP_2)
	v_add_co_u32 v2, vcc_lo, v2, v9
	v_add_co_ci_u32_e32 v4, vcc_lo, v4, v10, vcc_lo
	s_delay_alu instid0(VALU_DEP_2) | instskip(SKIP_1) | instid1(VALU_DEP_3)
	v_mul_hi_u32 v15, v7, v2
	v_mad_u64_u32 v[11:12], null, v8, v2, 0
	v_mad_u64_u32 v[9:10], null, v7, v4, 0
	;; [unrolled: 1-line block ×3, first 2 shown]
	s_delay_alu instid0(VALU_DEP_2) | instskip(NEXT) | instid1(VALU_DEP_3)
	v_add_co_u32 v2, vcc_lo, v15, v9
	v_add_co_ci_u32_e32 v4, vcc_lo, 0, v10, vcc_lo
	s_delay_alu instid0(VALU_DEP_2) | instskip(NEXT) | instid1(VALU_DEP_2)
	v_add_co_u32 v2, vcc_lo, v2, v11
	v_add_co_ci_u32_e32 v2, vcc_lo, v4, v12, vcc_lo
	v_add_co_ci_u32_e32 v4, vcc_lo, 0, v14, vcc_lo
	s_delay_alu instid0(VALU_DEP_2) | instskip(NEXT) | instid1(VALU_DEP_2)
	v_add_co_u32 v2, vcc_lo, v2, v13
	v_add_co_ci_u32_e32 v4, vcc_lo, 0, v4, vcc_lo
	s_delay_alu instid0(VALU_DEP_2) | instskip(SKIP_1) | instid1(VALU_DEP_3)
	v_mul_lo_u32 v11, s19, v2
	v_mad_u64_u32 v[9:10], null, s18, v2, 0
	v_mul_lo_u32 v12, s18, v4
	s_delay_alu instid0(VALU_DEP_2) | instskip(NEXT) | instid1(VALU_DEP_2)
	v_sub_co_u32 v9, vcc_lo, v7, v9
	v_add3_u32 v10, v10, v12, v11
	s_delay_alu instid0(VALU_DEP_1) | instskip(NEXT) | instid1(VALU_DEP_1)
	v_sub_nc_u32_e32 v11, v8, v10
	v_subrev_co_ci_u32_e64 v11, s2, s19, v11, vcc_lo
	v_add_co_u32 v12, s2, v2, 2
	s_delay_alu instid0(VALU_DEP_1) | instskip(SKIP_3) | instid1(VALU_DEP_3)
	v_add_co_ci_u32_e64 v13, s2, 0, v4, s2
	v_sub_co_u32 v14, s2, v9, s18
	v_sub_co_ci_u32_e32 v10, vcc_lo, v8, v10, vcc_lo
	v_subrev_co_ci_u32_e64 v11, s2, 0, v11, s2
	v_cmp_le_u32_e32 vcc_lo, s18, v14
	s_delay_alu instid0(VALU_DEP_3) | instskip(SKIP_1) | instid1(VALU_DEP_4)
	v_cmp_eq_u32_e64 s2, s19, v10
	v_cndmask_b32_e64 v14, 0, -1, vcc_lo
	v_cmp_le_u32_e32 vcc_lo, s19, v11
	v_cndmask_b32_e64 v15, 0, -1, vcc_lo
	v_cmp_le_u32_e32 vcc_lo, s18, v9
	;; [unrolled: 2-line block ×3, first 2 shown]
	v_cndmask_b32_e64 v16, 0, -1, vcc_lo
	v_cmp_eq_u32_e32 vcc_lo, s19, v11
	s_delay_alu instid0(VALU_DEP_2) | instskip(SKIP_3) | instid1(VALU_DEP_3)
	v_cndmask_b32_e64 v9, v16, v9, s2
	v_cndmask_b32_e32 v11, v15, v14, vcc_lo
	v_add_co_u32 v14, vcc_lo, v2, 1
	v_add_co_ci_u32_e32 v15, vcc_lo, 0, v4, vcc_lo
	v_cmp_ne_u32_e32 vcc_lo, 0, v11
	s_delay_alu instid0(VALU_DEP_2) | instskip(SKIP_1) | instid1(VALU_DEP_2)
	v_dual_cndmask_b32 v10, v15, v13 :: v_dual_cndmask_b32 v11, v14, v12
	v_cmp_ne_u32_e32 vcc_lo, 0, v9
	v_dual_cndmask_b32 v10, v4, v10 :: v_dual_cndmask_b32 v9, v2, v11
.LBB0_4:                                ;   in Loop: Header=BB0_2 Depth=1
	s_and_not1_saveexec_b32 s2, s3
	s_cbranch_execz .LBB0_6
; %bb.5:                                ;   in Loop: Header=BB0_2 Depth=1
	v_cvt_f32_u32_e32 v2, s18
	s_sub_i32 s3, 0, s18
	s_delay_alu instid0(VALU_DEP_1) | instskip(SKIP_2) | instid1(VALU_DEP_1)
	v_rcp_iflag_f32_e32 v2, v2
	s_waitcnt_depctr 0xfff
	v_mul_f32_e32 v2, 0x4f7ffffe, v2
	v_cvt_u32_f32_e32 v2, v2
	s_delay_alu instid0(VALU_DEP_1) | instskip(NEXT) | instid1(VALU_DEP_1)
	v_mul_lo_u32 v4, s3, v2
	v_mul_hi_u32 v4, v2, v4
	s_delay_alu instid0(VALU_DEP_1) | instskip(NEXT) | instid1(VALU_DEP_1)
	v_add_nc_u32_e32 v2, v2, v4
	v_mul_hi_u32 v2, v7, v2
	s_delay_alu instid0(VALU_DEP_1) | instskip(SKIP_1) | instid1(VALU_DEP_2)
	v_mul_lo_u32 v4, v2, s18
	v_add_nc_u32_e32 v9, 1, v2
	v_sub_nc_u32_e32 v4, v7, v4
	s_delay_alu instid0(VALU_DEP_1) | instskip(SKIP_1) | instid1(VALU_DEP_2)
	v_subrev_nc_u32_e32 v10, s18, v4
	v_cmp_le_u32_e32 vcc_lo, s18, v4
	v_cndmask_b32_e32 v4, v4, v10, vcc_lo
	v_mov_b32_e32 v10, v3
	v_cndmask_b32_e32 v2, v2, v9, vcc_lo
	s_delay_alu instid0(VALU_DEP_3) | instskip(NEXT) | instid1(VALU_DEP_2)
	v_cmp_le_u32_e32 vcc_lo, s18, v4
	v_add_nc_u32_e32 v9, 1, v2
	s_delay_alu instid0(VALU_DEP_1)
	v_cndmask_b32_e32 v9, v2, v9, vcc_lo
.LBB0_6:                                ;   in Loop: Header=BB0_2 Depth=1
	s_or_b32 exec_lo, exec_lo, s2
	s_load_b64 s[2:3], s[12:13], 0x0
	v_mul_lo_u32 v2, v10, s18
	s_delay_alu instid0(VALU_DEP_2)
	v_mul_lo_u32 v4, v9, s19
	v_mad_u64_u32 v[11:12], null, v9, s18, 0
	s_add_u32 s16, s16, 1
	s_addc_u32 s17, s17, 0
	s_add_u32 s12, s12, 8
	s_addc_u32 s13, s13, 0
	;; [unrolled: 2-line block ×3, first 2 shown]
	s_delay_alu instid0(VALU_DEP_1) | instskip(SKIP_1) | instid1(VALU_DEP_2)
	v_add3_u32 v2, v12, v4, v2
	v_sub_co_u32 v4, vcc_lo, v7, v11
	v_sub_co_ci_u32_e32 v2, vcc_lo, v8, v2, vcc_lo
	s_waitcnt lgkmcnt(0)
	s_delay_alu instid0(VALU_DEP_2) | instskip(NEXT) | instid1(VALU_DEP_2)
	v_mul_lo_u32 v11, s3, v4
	v_mul_lo_u32 v2, s2, v2
	v_mad_u64_u32 v[7:8], null, s2, v4, v[5:6]
	v_cmp_ge_u64_e64 s2, s[16:17], s[6:7]
	s_delay_alu instid0(VALU_DEP_1) | instskip(NEXT) | instid1(VALU_DEP_2)
	s_and_b32 vcc_lo, exec_lo, s2
	v_add3_u32 v6, v11, v8, v2
	s_delay_alu instid0(VALU_DEP_3)
	v_mov_b32_e32 v5, v7
	s_cbranch_vccnz .LBB0_8
; %bb.7:                                ;   in Loop: Header=BB0_2 Depth=1
	v_dual_mov_b32 v7, v9 :: v_dual_mov_b32 v8, v10
	s_branch .LBB0_2
.LBB0_8:
	v_mul_hi_u32 v2, 0x24924925, v1
	s_lshl_b64 s[2:3], s[6:7], 3
	s_load_b64 s[0:1], s[0:1], 0x20
	s_add_u32 s2, s10, s2
	s_addc_u32 s3, s11, s3
	v_mul_hi_u32 v4, 0xf0f0f10, v0
	s_load_b64 s[2:3], s[2:3], 0x0
	s_delay_alu instid0(VALU_DEP_2) | instskip(NEXT) | instid1(VALU_DEP_2)
	v_sub_nc_u32_e32 v3, v1, v2
	v_mul_u32_u24_e32 v4, 17, v4
	s_delay_alu instid0(VALU_DEP_2) | instskip(NEXT) | instid1(VALU_DEP_2)
	v_lshrrev_b32_e32 v3, 1, v3
	v_sub_nc_u32_e32 v68, v0, v4
	s_delay_alu instid0(VALU_DEP_2) | instskip(SKIP_2) | instid1(VALU_DEP_3)
	v_add_nc_u32_e32 v2, v3, v2
	s_waitcnt lgkmcnt(0)
	v_cmp_gt_u64_e32 vcc_lo, s[0:1], v[9:10]
	v_lshlrev_b32_e32 v244, 4, v68
	s_delay_alu instid0(VALU_DEP_3) | instskip(SKIP_2) | instid1(VALU_DEP_3)
	v_lshrrev_b32_e32 v2, 2, v2
	v_mul_lo_u32 v8, s2, v10
	v_mul_lo_u32 v11, s3, v9
	v_mul_lo_u32 v7, v2, 7
	v_mad_u64_u32 v[2:3], null, s2, v9, v[5:6]
	s_delay_alu instid0(VALU_DEP_2) | instskip(NEXT) | instid1(VALU_DEP_2)
	v_sub_nc_u32_e32 v1, v1, v7
	v_add3_u32 v3, v11, v3, v8
	s_delay_alu instid0(VALU_DEP_2) | instskip(NEXT) | instid1(VALU_DEP_2)
	v_mul_u32_u24_e32 v1, 0x111, v1
	v_lshlrev_b64 v[70:71], 4, v[2:3]
	s_delay_alu instid0(VALU_DEP_2)
	v_lshlrev_b32_e32 v28, 4, v1
	s_and_saveexec_b32 s1, vcc_lo
	s_cbranch_execz .LBB0_10
; %bb.9:
	v_mov_b32_e32 v69, 0
	s_delay_alu instid0(VALU_DEP_3) | instskip(NEXT) | instid1(VALU_DEP_1)
	v_add_co_u32 v2, s0, s8, v70
	v_add_co_ci_u32_e64 v3, s0, s9, v71, s0
	s_delay_alu instid0(VALU_DEP_3) | instskip(SKIP_1) | instid1(VALU_DEP_2)
	v_lshlrev_b64 v[0:1], 4, v[68:69]
	v_add3_u32 v65, 0, v28, v244
	v_add_co_u32 v61, s0, v2, v0
	s_delay_alu instid0(VALU_DEP_1)
	v_add_co_ci_u32_e64 v62, s0, v3, v1, s0
	s_clause 0xf
	global_load_b128 v[0:3], v[61:62], off
	global_load_b128 v[4:7], v[61:62], off offset:272
	global_load_b128 v[8:11], v[61:62], off offset:544
	;; [unrolled: 1-line block ×15, first 2 shown]
	s_waitcnt vmcnt(15)
	ds_store_b128 v65, v[0:3]
	s_waitcnt vmcnt(14)
	ds_store_b128 v65, v[4:7] offset:272
	s_waitcnt vmcnt(13)
	ds_store_b128 v65, v[8:11] offset:544
	s_waitcnt vmcnt(12)
	ds_store_b128 v65, v[12:15] offset:816
	s_waitcnt vmcnt(11)
	ds_store_b128 v65, v[16:19] offset:1088
	s_waitcnt vmcnt(10)
	ds_store_b128 v65, v[20:23] offset:1360
	s_waitcnt vmcnt(9)
	ds_store_b128 v65, v[24:27] offset:1632
	s_waitcnt vmcnt(8)
	ds_store_b128 v65, v[29:32] offset:1904
	s_waitcnt vmcnt(7)
	ds_store_b128 v65, v[33:36] offset:2176
	s_waitcnt vmcnt(6)
	ds_store_b128 v65, v[37:40] offset:2448
	s_waitcnt vmcnt(5)
	ds_store_b128 v65, v[41:44] offset:2720
	s_waitcnt vmcnt(4)
	ds_store_b128 v65, v[45:48] offset:2992
	s_waitcnt vmcnt(3)
	ds_store_b128 v65, v[49:52] offset:3264
	s_waitcnt vmcnt(2)
	ds_store_b128 v65, v[53:56] offset:3536
	s_waitcnt vmcnt(1)
	ds_store_b128 v65, v[57:60] offset:3808
	s_waitcnt vmcnt(0)
	ds_store_b128 v65, v[61:64] offset:4080
.LBB0_10:
	s_or_b32 exec_lo, exec_lo, s1
	s_delay_alu instid0(VALU_DEP_1)
	v_add_nc_u32_e32 v243, 0, v28
	v_add3_u32 v69, 0, v244, v28
	s_waitcnt lgkmcnt(0)
	s_barrier
	buffer_gl0_inv
	v_add_nc_u32_e32 v242, v243, v244
	ds_load_b128 v[0:3], v69 offset:1088
	ds_load_b128 v[4:7], v69 offset:3264
	ds_load_b128 v[8:11], v69 offset:544
	ds_load_b128 v[12:15], v69 offset:816
	ds_load_b128 v[16:19], v69 offset:2720
	ds_load_b128 v[20:23], v69 offset:1632
	ds_load_b128 v[24:27], v69 offset:3808
	ds_load_b128 v[29:32], v69 offset:2176
	ds_load_b128 v[33:36], v69 offset:2992
	ds_load_b128 v[37:40], v242
	ds_load_b128 v[41:44], v69 offset:272
	ds_load_b128 v[45:48], v69 offset:1904
	;; [unrolled: 1-line block ×6, first 2 shown]
	s_mov_b32 s0, 0x667f3bcd
	s_mov_b32 s1, 0xbfe6a09e
	;; [unrolled: 1-line block ×5, first 2 shown]
	s_waitcnt lgkmcnt(14)
	v_add_f64 v[4:5], v[0:1], -v[4:5]
	v_add_f64 v[6:7], v[2:3], -v[6:7]
	s_mov_b32 s10, 0xa6aea964
	s_waitcnt lgkmcnt(11)
	v_add_f64 v[16:17], v[8:9], -v[16:17]
	v_add_f64 v[18:19], v[10:11], -v[18:19]
	s_waitcnt lgkmcnt(9)
	v_add_f64 v[24:25], v[20:21], -v[24:25]
	v_add_f64 v[26:27], v[22:23], -v[26:27]
	s_waitcnt lgkmcnt(7)
	v_add_f64 v[33:34], v[12:13], -v[33:34]
	s_waitcnt lgkmcnt(6)
	v_add_f64 v[29:30], v[37:38], -v[29:30]
	v_add_f64 v[31:32], v[39:40], -v[31:32]
	;; [unrolled: 1-line block ×3, first 2 shown]
	s_waitcnt lgkmcnt(3)
	v_add_f64 v[51:52], v[47:48], -v[51:52]
	v_add_f64 v[49:50], v[45:46], -v[49:50]
	s_waitcnt lgkmcnt(1)
	v_add_f64 v[57:58], v[41:42], -v[57:58]
	s_waitcnt lgkmcnt(0)
	v_add_f64 v[61:62], v[53:54], -v[61:62]
	v_add_f64 v[63:64], v[55:56], -v[63:64]
	;; [unrolled: 1-line block ×3, first 2 shown]
	s_mov_b32 s7, 0xbfed906b
	s_mov_b32 s11, 0x3fd87de2
	;; [unrolled: 1-line block ×6, first 2 shown]
	s_barrier
	buffer_gl0_inv
	v_fma_f64 v[0:1], v[0:1], 2.0, -v[4:5]
	v_fma_f64 v[2:3], v[2:3], 2.0, -v[6:7]
	v_add_f64 v[72:73], v[18:19], -v[24:25]
	v_add_f64 v[65:66], v[16:17], v[26:27]
	v_fma_f64 v[12:13], v[12:13], 2.0, -v[33:34]
	v_add_f64 v[78:79], v[29:30], v[6:7]
	v_add_f64 v[80:81], v[31:32], -v[4:5]
	v_fma_f64 v[4:5], v[8:9], 2.0, -v[16:17]
	v_add_f64 v[74:75], v[33:34], v[51:52]
	v_add_f64 v[76:77], v[35:36], -v[49:50]
	v_fma_f64 v[6:7], v[10:11], 2.0, -v[18:19]
	v_fma_f64 v[8:9], v[20:21], 2.0, -v[24:25]
	v_add_f64 v[82:83], v[57:58], v[63:64]
	v_add_f64 v[84:85], v[59:60], -v[61:62]
	v_fma_f64 v[10:11], v[22:23], 2.0, -v[26:27]
	v_fma_f64 v[14:15], v[14:15], 2.0, -v[35:36]
	;; [unrolled: 1-line block ×14, first 2 shown]
	v_fma_f64 v[49:50], v[65:66], s[2:3], v[78:79]
	v_fma_f64 v[33:34], v[33:34], 2.0, -v[74:75]
	v_fma_f64 v[35:36], v[35:36], 2.0, -v[76:77]
	v_fma_f64 v[51:52], v[72:73], s[2:3], v[80:81]
	v_add_f64 v[8:9], v[4:5], -v[8:9]
	v_fma_f64 v[45:46], v[57:58], 2.0, -v[82:83]
	v_fma_f64 v[47:48], v[59:60], 2.0, -v[84:85]
	v_add_f64 v[10:11], v[6:7], -v[10:11]
	v_fma_f64 v[53:54], v[74:75], s[2:3], v[82:83]
	v_add_f64 v[20:21], v[12:13], -v[20:21]
	v_add_f64 v[22:23], v[14:15], -v[22:23]
	;; [unrolled: 1-line block ×4, first 2 shown]
	v_fma_f64 v[55:56], v[76:77], s[2:3], v[84:85]
	v_add_f64 v[37:38], v[41:42], -v[37:38]
	v_add_f64 v[39:40], v[43:44], -v[39:40]
	v_fma_f64 v[57:58], v[16:17], s[0:1], v[29:30]
	v_fma_f64 v[59:60], v[18:19], s[0:1], v[31:32]
	;; [unrolled: 1-line block ×4, first 2 shown]
	v_fma_f64 v[4:5], v[4:5], 2.0, -v[8:9]
	v_fma_f64 v[61:62], v[33:34], s[0:1], v[45:46]
	v_fma_f64 v[63:64], v[35:36], s[0:1], v[47:48]
	v_fma_f64 v[6:7], v[6:7], 2.0, -v[10:11]
	v_fma_f64 v[49:50], v[76:77], s[2:3], v[53:54]
	v_fma_f64 v[12:13], v[12:13], 2.0, -v[20:21]
	v_fma_f64 v[14:15], v[14:15], 2.0, -v[22:23]
	;; [unrolled: 1-line block ×4, first 2 shown]
	v_add_f64 v[86:87], v[0:1], v[10:11]
	v_add_f64 v[88:89], v[2:3], -v[8:9]
	v_add_f64 v[8:9], v[37:38], v[22:23]
	v_add_f64 v[10:11], v[39:40], -v[20:21]
	v_fma_f64 v[51:52], v[74:75], s[0:1], v[55:56]
	v_fma_f64 v[20:21], v[41:42], 2.0, -v[37:38]
	v_fma_f64 v[22:23], v[43:44], 2.0, -v[39:40]
	v_fma_f64 v[74:75], v[18:19], s[2:3], v[57:58]
	v_fma_f64 v[76:77], v[16:17], s[0:1], v[59:60]
	v_fma_f64 v[78:79], v[78:79], 2.0, -v[72:73]
	v_fma_f64 v[80:81], v[80:81], 2.0, -v[90:91]
	v_fma_f64 v[16:17], v[35:36], s[2:3], v[61:62]
	v_fma_f64 v[18:19], v[33:34], s[0:1], v[63:64]
	v_add_f64 v[4:5], v[24:25], -v[4:5]
	v_add_f64 v[6:7], v[26:27], -v[6:7]
	v_fma_f64 v[0:1], v[0:1], 2.0, -v[86:87]
	v_fma_f64 v[2:3], v[2:3], 2.0, -v[88:89]
	;; [unrolled: 1-line block ×6, first 2 shown]
	v_add_f64 v[12:13], v[20:21], -v[12:13]
	v_add_f64 v[14:15], v[22:23], -v[14:15]
	v_fma_f64 v[43:44], v[8:9], s[2:3], v[86:87]
	v_fma_f64 v[53:54], v[51:52], s[14:15], v[90:91]
	v_fma_f64 v[29:30], v[29:30], 2.0, -v[74:75]
	v_fma_f64 v[82:83], v[31:32], 2.0, -v[76:77]
	;; [unrolled: 1-line block ×4, first 2 shown]
	v_fma_f64 v[45:46], v[10:11], s[2:3], v[88:89]
	v_fma_f64 v[47:48], v[49:50], s[14:15], v[72:73]
	;; [unrolled: 1-line block ×4, first 2 shown]
	v_fma_f64 v[84:85], v[24:25], 2.0, -v[4:5]
	v_fma_f64 v[92:93], v[26:27], 2.0, -v[6:7]
	v_fma_f64 v[24:25], v[33:34], s[0:1], v[0:1]
	v_fma_f64 v[26:27], v[35:36], s[0:1], v[2:3]
	;; [unrolled: 1-line block ×4, first 2 shown]
	v_fma_f64 v[94:95], v[20:21], 2.0, -v[12:13]
	v_fma_f64 v[96:97], v[22:23], 2.0, -v[14:15]
	v_fma_f64 v[20:21], v[10:11], s[2:3], v[43:44]
	v_fma_f64 v[10:11], v[49:50], s[12:13], v[53:54]
	;; [unrolled: 1-line block ×6, first 2 shown]
	v_add_f64 v[48:49], v[4:5], v[14:15]
	v_add_f64 v[50:51], v[6:7], -v[12:13]
	v_fma_f64 v[56:57], v[35:36], s[2:3], v[24:25]
	v_fma_f64 v[58:59], v[33:34], s[0:1], v[26:27]
	;; [unrolled: 1-line block ×6, first 2 shown]
	v_add_f64 v[60:61], v[84:85], -v[94:95]
	v_add_f64 v[62:63], v[92:93], -v[96:97]
	v_fma_f64 v[46:47], v[90:91], 2.0, -v[10:11]
	v_cmp_gt_u32_e64 s0, 16, v68
	v_fma_f64 v[64:65], v[41:42], s[10:11], v[98:99]
	v_fma_f64 v[66:67], v[31:32], s[12:13], v[100:101]
	v_fma_f64 v[40:41], v[86:87], 2.0, -v[20:21]
	v_fma_f64 v[42:43], v[88:89], 2.0, -v[22:23]
	;; [unrolled: 1-line block ×15, first 2 shown]
	v_lshl_add_u32 v29, v68, 8, 0
	s_delay_alu instid0(VALU_DEP_1)
	v_add_nc_u32_e32 v30, v29, v28
	ds_store_b128 v30, v[20:23] offset:224
	ds_store_b128 v30, v[8:11] offset:240
	;; [unrolled: 1-line block ×14, first 2 shown]
	ds_store_b128 v30, v[0:3]
	ds_store_b128 v30, v[12:15] offset:16
	s_waitcnt lgkmcnt(0)
	s_barrier
	buffer_gl0_inv
                                        ; implicit-def: $vgpr30_vgpr31
	s_and_saveexec_b32 s1, s0
	s_cbranch_execz .LBB0_12
; %bb.11:
	v_mul_i32_i24_e32 v0, 0xffffff10, v68
	s_delay_alu instid0(VALU_DEP_1)
	v_add3_u32 v28, v29, v0, v28
	ds_load_b128 v[0:3], v242
	ds_load_b128 v[12:15], v28 offset:256
	ds_load_b128 v[4:7], v28 offset:512
	;; [unrolled: 1-line block ×16, first 2 shown]
.LBB0_12:
	s_or_b32 exec_lo, exec_lo, s1
	s_waitcnt lgkmcnt(0)
	s_barrier
	buffer_gl0_inv
	s_and_saveexec_b32 s33, s0
	s_cbranch_execz .LBB0_14
; %bb.13:
	v_and_b32_e32 v72, 0xf0, v244
	s_mov_b32 s44, 0xeb564b22
	s_mov_b32 s45, 0x3fefdd0d
	;; [unrolled: 1-line block ×4, first 2 shown]
	v_lshlrev_b32_e32 v100, 4, v72
	s_mov_b32 s10, 0x923c349f
	s_mov_b32 s38, 0x7c9e640b
	;; [unrolled: 1-line block ×4, first 2 shown]
	s_clause 0x1
	global_load_b128 v[74:77], v100, s[4:5] offset:112
	global_load_b128 v[78:81], v100, s[4:5] offset:96
	s_mov_b32 s2, 0x4363dd80
	s_mov_b32 s36, 0x5d8e7cdc
	;; [unrolled: 1-line block ×38, first 2 shown]
	s_waitcnt vmcnt(1)
	v_mul_f64 v[72:73], v[62:63], v[76:77]
	s_delay_alu instid0(VALU_DEP_1) | instskip(SKIP_1) | instid1(VALU_DEP_1)
	v_fma_f64 v[72:73], v[60:61], v[74:75], v[72:73]
	v_mul_f64 v[60:61], v[60:61], v[76:77]
	v_fma_f64 v[60:61], v[62:63], v[74:75], -v[60:61]
	s_clause 0x1
	global_load_b128 v[74:77], v100, s[4:5] offset:128
	global_load_b128 v[82:85], v100, s[4:5] offset:144
	s_waitcnt vmcnt(1)
	v_mul_f64 v[62:63], v[66:67], v[76:77]
	s_delay_alu instid0(VALU_DEP_1) | instskip(SKIP_1) | instid1(VALU_DEP_2)
	v_fma_f64 v[62:63], v[64:65], v[74:75], v[62:63]
	v_mul_f64 v[64:65], v[64:65], v[76:77]
	v_add_f64 v[180:181], v[72:73], -v[62:63]
	s_delay_alu instid0(VALU_DEP_2) | instskip(SKIP_2) | instid1(VALU_DEP_4)
	v_fma_f64 v[64:65], v[66:67], v[74:75], -v[64:65]
	v_mul_f64 v[66:67], v[46:47], v[80:81]
	v_add_f64 v[146:147], v[72:73], v[62:63]
	v_mul_f64 v[214:215], v[180:181], s[44:45]
	s_delay_alu instid0(VALU_DEP_4) | instskip(NEXT) | instid1(VALU_DEP_4)
	v_add_f64 v[182:183], v[60:61], -v[64:65]
	v_fma_f64 v[66:67], v[44:45], v[78:79], v[66:67]
	v_mul_f64 v[44:45], v[44:45], v[80:81]
	s_delay_alu instid0(VALU_DEP_3) | instskip(NEXT) | instid1(VALU_DEP_2)
	v_mul_f64 v[216:217], v[182:183], s[44:45]
	v_fma_f64 v[76:77], v[46:47], v[78:79], -v[44:45]
	s_waitcnt vmcnt(0)
	v_mul_f64 v[44:45], v[58:59], v[84:85]
	s_delay_alu instid0(VALU_DEP_1) | instskip(SKIP_1) | instid1(VALU_DEP_2)
	v_fma_f64 v[74:75], v[56:57], v[82:83], v[44:45]
	v_mul_f64 v[44:45], v[56:57], v[84:85]
	v_add_f64 v[176:177], v[66:67], -v[74:75]
	s_delay_alu instid0(VALU_DEP_2)
	v_fma_f64 v[56:57], v[58:59], v[82:83], -v[44:45]
	s_clause 0x1
	global_load_b128 v[44:47], v100, s[4:5] offset:80
	global_load_b128 v[84:87], v100, s[4:5] offset:64
	v_mul_f64 v[208:209], v[176:177], s[10:11]
	v_add_f64 v[178:179], v[76:77], -v[56:57]
	v_mul_f64 v[224:225], v[176:177], s[12:13]
	s_delay_alu instid0(VALU_DEP_2) | instskip(SKIP_2) | instid1(VALU_DEP_1)
	v_mul_f64 v[210:211], v[178:179], s[10:11]
	s_waitcnt vmcnt(1)
	v_mul_f64 v[58:59], v[42:43], v[46:47]
	v_fma_f64 v[78:79], v[40:41], v[44:45], v[58:59]
	v_mul_f64 v[40:41], v[40:41], v[46:47]
	s_delay_alu instid0(VALU_DEP_1)
	v_fma_f64 v[80:81], v[42:43], v[44:45], -v[40:41]
	s_clause 0x1
	global_load_b128 v[40:43], v100, s[4:5] offset:160
	global_load_b128 v[44:47], v100, s[4:5] offset:176
	s_waitcnt vmcnt(1)
	v_mul_f64 v[58:59], v[54:55], v[42:43]
	v_mul_f64 v[42:43], v[52:53], v[42:43]
	s_delay_alu instid0(VALU_DEP_2) | instskip(NEXT) | instid1(VALU_DEP_2)
	v_fma_f64 v[58:59], v[52:53], v[40:41], v[58:59]
	v_fma_f64 v[52:53], v[54:55], v[40:41], -v[42:43]
	v_mul_f64 v[40:41], v[38:39], v[86:87]
	s_delay_alu instid0(VALU_DEP_3) | instskip(NEXT) | instid1(VALU_DEP_3)
	v_add_f64 v[168:169], v[78:79], -v[58:59]
	v_add_f64 v[170:171], v[80:81], -v[52:53]
	s_delay_alu instid0(VALU_DEP_3) | instskip(SKIP_1) | instid1(VALU_DEP_4)
	v_fma_f64 v[82:83], v[36:37], v[84:85], v[40:41]
	v_mul_f64 v[36:37], v[36:37], v[86:87]
	v_mul_f64 v[204:205], v[168:169], s[38:39]
	s_delay_alu instid0(VALU_DEP_4) | instskip(SKIP_1) | instid1(VALU_DEP_4)
	v_mul_f64 v[206:207], v[170:171], s[38:39]
	v_mul_f64 v[228:229], v[168:169], s[40:41]
	v_fma_f64 v[84:85], v[38:39], v[84:85], -v[36:37]
	s_waitcnt vmcnt(0)
	v_mul_f64 v[36:37], v[50:51], v[46:47]
	v_mul_f64 v[222:223], v[170:171], s[40:41]
	s_delay_alu instid0(VALU_DEP_2) | instskip(SKIP_1) | instid1(VALU_DEP_2)
	v_fma_f64 v[54:55], v[48:49], v[44:45], v[36:37]
	v_mul_f64 v[36:37], v[48:49], v[46:47]
	v_add_f64 v[164:165], v[82:83], -v[54:55]
	s_delay_alu instid0(VALU_DEP_2)
	v_fma_f64 v[48:49], v[50:51], v[44:45], -v[36:37]
	s_clause 0x1
	global_load_b128 v[36:39], v100, s[4:5] offset:48
	global_load_b128 v[40:43], v100, s[4:5] offset:32
	v_mul_f64 v[200:201], v[164:165], s[6:7]
	v_add_f64 v[166:167], v[84:85], -v[48:49]
	v_mul_f64 v[232:233], v[164:165], s[42:43]
	s_delay_alu instid0(VALU_DEP_2) | instskip(SKIP_3) | instid1(VALU_DEP_1)
	v_mul_f64 v[202:203], v[166:167], s[6:7]
	v_mul_f64 v[226:227], v[166:167], s[42:43]
	s_waitcnt vmcnt(1)
	v_mul_f64 v[44:45], v[34:35], v[38:39]
	v_fma_f64 v[50:51], v[32:33], v[36:37], v[44:45]
	v_mul_f64 v[32:33], v[32:33], v[38:39]
	s_delay_alu instid0(VALU_DEP_1)
	v_fma_f64 v[86:87], v[34:35], v[36:37], -v[32:33]
	s_clause 0x1
	global_load_b128 v[32:35], v100, s[4:5] offset:192
	global_load_b128 v[36:39], v100, s[4:5] offset:208
	s_waitcnt vmcnt(1)
	v_mul_f64 v[44:45], v[26:27], v[34:35]
	s_delay_alu instid0(VALU_DEP_1) | instskip(SKIP_1) | instid1(VALU_DEP_2)
	v_fma_f64 v[88:89], v[24:25], v[32:33], v[44:45]
	v_mul_f64 v[24:25], v[24:25], v[34:35]
	v_add_f64 v[160:161], v[50:51], -v[88:89]
	s_delay_alu instid0(VALU_DEP_2) | instskip(SKIP_1) | instid1(VALU_DEP_3)
	v_fma_f64 v[90:91], v[26:27], v[32:33], -v[24:25]
	v_mul_f64 v[24:25], v[18:19], v[42:43]
	v_mul_f64 v[236:237], v[160:161], s[46:47]
	s_delay_alu instid0(VALU_DEP_3) | instskip(NEXT) | instid1(VALU_DEP_3)
	v_add_f64 v[162:163], v[86:87], -v[90:91]
	v_fma_f64 v[92:93], v[16:17], v[40:41], v[24:25]
	v_mul_f64 v[16:17], v[16:17], v[42:43]
	s_delay_alu instid0(VALU_DEP_3) | instskip(SKIP_1) | instid1(VALU_DEP_3)
	v_mul_f64 v[198:199], v[162:163], s[42:43]
	v_mul_f64 v[230:231], v[162:163], s[46:47]
	v_fma_f64 v[94:95], v[18:19], v[40:41], -v[16:17]
	s_waitcnt vmcnt(0)
	v_mul_f64 v[16:17], v[22:23], v[38:39]
	s_delay_alu instid0(VALU_DEP_1) | instskip(SKIP_1) | instid1(VALU_DEP_2)
	v_fma_f64 v[96:97], v[20:21], v[36:37], v[16:17]
	v_mul_f64 v[16:17], v[20:21], v[38:39]
	v_add_f64 v[156:157], v[92:93], -v[96:97]
	s_delay_alu instid0(VALU_DEP_2)
	v_fma_f64 v[98:99], v[22:23], v[36:37], -v[16:17]
	s_clause 0x1
	global_load_b128 v[18:21], v100, s[4:5]
	global_load_b128 v[22:25], v100, s[4:5] offset:16
	v_add_f64 v[158:159], v[94:95], -v[98:99]
	s_waitcnt vmcnt(1)
	v_mul_f64 v[16:17], v[14:15], v[20:21]
	s_delay_alu instid0(VALU_DEP_1) | instskip(SKIP_1) | instid1(VALU_DEP_1)
	v_fma_f64 v[16:17], v[12:13], v[18:19], v[16:17]
	v_mul_f64 v[12:13], v[12:13], v[20:21]
	v_fma_f64 v[12:13], v[14:15], v[18:19], -v[12:13]
	s_clause 0x1
	global_load_b128 v[18:21], v100, s[4:5] offset:240
	global_load_b128 v[32:35], v100, s[4:5] offset:224
	s_waitcnt vmcnt(1)
	v_mul_f64 v[14:15], v[30:31], v[20:21]
	s_delay_alu instid0(VALU_DEP_1) | instskip(SKIP_1) | instid1(VALU_DEP_2)
	v_fma_f64 v[100:101], v[28:29], v[18:19], v[14:15]
	v_mul_f64 v[14:15], v[28:29], v[20:21]
	v_add_f64 v[120:121], v[16:17], v[100:101]
	s_delay_alu instid0(VALU_DEP_2) | instskip(SKIP_1) | instid1(VALU_DEP_1)
	v_fma_f64 v[102:103], v[30:31], v[18:19], -v[14:15]
	v_mul_f64 v[14:15], v[6:7], v[24:25]
	v_fma_f64 v[108:109], v[4:5], v[22:23], v[14:15]
	v_mul_f64 v[4:5], v[4:5], v[24:25]
	s_delay_alu instid0(VALU_DEP_4) | instskip(NEXT) | instid1(VALU_DEP_2)
	v_add_f64 v[24:25], v[12:13], v[102:103]
	v_fma_f64 v[110:111], v[6:7], v[22:23], -v[4:5]
	s_waitcnt vmcnt(0)
	v_mul_f64 v[4:5], v[10:11], v[34:35]
	s_delay_alu instid0(VALU_DEP_1) | instskip(SKIP_1) | instid1(VALU_DEP_2)
	v_fma_f64 v[104:105], v[8:9], v[32:33], v[4:5]
	v_mul_f64 v[4:5], v[8:9], v[34:35]
	v_add_f64 v[152:153], v[108:109], -v[104:105]
	s_delay_alu instid0(VALU_DEP_2) | instskip(SKIP_1) | instid1(VALU_DEP_3)
	v_fma_f64 v[106:107], v[10:11], v[32:33], -v[4:5]
	v_add_f64 v[4:5], v[16:17], -v[100:101]
	v_mul_f64 v[245:246], v[152:153], s[6:7]
	s_delay_alu instid0(VALU_DEP_3) | instskip(NEXT) | instid1(VALU_DEP_3)
	v_add_f64 v[154:155], v[110:111], -v[106:107]
	v_mul_f64 v[18:19], v[4:5], s[12:13]
	v_mul_f64 v[6:7], v[4:5], s[0:1]
	;; [unrolled: 1-line block ×9, first 2 shown]
	v_fma_f64 v[34:35], v[24:25], s[20:21], v[18:19]
	v_fma_f64 v[36:37], v[24:25], s[20:21], -v[18:19]
	v_add_f64 v[18:19], v[12:13], -v[102:103]
	v_fma_f64 v[26:27], v[24:25], s[30:31], v[6:7]
	v_fma_f64 v[6:7], v[24:25], s[30:31], -v[6:7]
	v_fma_f64 v[28:29], v[24:25], s[22:23], v[8:9]
	v_fma_f64 v[8:9], v[24:25], s[22:23], -v[8:9]
	;; [unrolled: 2-line block ×7, first 2 shown]
	v_add_f64 v[34:35], v[2:3], v[34:35]
	v_mul_f64 v[20:21], v[18:19], s[0:1]
	v_mul_f64 v[22:23], v[18:19], s[2:3]
	;; [unrolled: 1-line block ×8, first 2 shown]
	v_add_f64 v[190:191], v[2:3], v[28:29]
	v_add_f64 v[186:187], v[2:3], v[40:41]
	;; [unrolled: 1-line block ×4, first 2 shown]
	v_mul_f64 v[8:9], v[154:155], s[36:37]
	v_add_f64 v[6:7], v[2:3], v[6:7]
	v_add_f64 v[150:151], v[2:3], v[4:5]
	v_mul_f64 v[4:5], v[152:153], s[36:37]
	v_add_f64 v[42:43], v[2:3], v[42:43]
	v_add_f64 v[46:47], v[2:3], v[46:47]
	;; [unrolled: 1-line block ×3, first 2 shown]
	v_fma_f64 v[122:123], v[120:121], s[30:31], -v[20:21]
	v_fma_f64 v[20:21], v[120:121], s[30:31], v[20:21]
	v_fma_f64 v[124:125], v[120:121], s[22:23], -v[22:23]
	v_fma_f64 v[22:23], v[120:121], s[22:23], v[22:23]
	;; [unrolled: 2-line block ×8, first 2 shown]
	v_add_f64 v[116:117], v[2:3], v[12:13]
	v_add_f64 v[118:119], v[0:1], v[16:17]
	;; [unrolled: 1-line block ×26, first 2 shown]
	v_mul_f64 v[10:11], v[156:157], s[2:3]
	v_add_f64 v[122:123], v[108:109], v[104:105]
	v_add_f64 v[126:127], v[92:93], v[96:97]
	;; [unrolled: 1-line block ×5, first 2 shown]
	v_fma_f64 v[0:1], v[120:121], s[34:35], v[4:5]
	v_fma_f64 v[4:5], v[120:121], s[34:35], -v[4:5]
	v_fma_f64 v[2:3], v[122:123], s[34:35], -v[8:9]
	v_add_f64 v[94:95], v[110:111], v[94:95]
	v_add_f64 v[92:93], v[108:109], v[92:93]
	;; [unrolled: 1-line block ×3, first 2 shown]
	v_fma_f64 v[12:13], v[124:125], s[22:23], v[10:11]
	v_add_f64 v[4:5], v[4:5], v[6:7]
	v_fma_f64 v[6:7], v[122:123], s[34:35], v[8:9]
	v_fma_f64 v[8:9], v[124:125], s[22:23], -v[10:11]
	v_add_f64 v[2:3], v[2:3], v[142:143]
	v_fma_f64 v[10:11], v[146:147], s[20:21], v[216:217]
	v_add_f64 v[86:87], v[94:95], v[86:87]
	v_add_f64 v[0:1], v[12:13], v[0:1]
	v_mul_f64 v[12:13], v[158:159], s[2:3]
	v_add_f64 v[6:7], v[6:7], v[188:189]
	v_add_f64 v[4:5], v[8:9], v[4:5]
	v_mul_f64 v[188:189], v[156:157], s[12:13]
	s_delay_alu instid0(VALU_DEP_4) | instskip(SKIP_2) | instid1(VALU_DEP_3)
	v_fma_f64 v[14:15], v[126:127], s[22:23], -v[12:13]
	v_fma_f64 v[8:9], v[126:127], s[22:23], v[12:13]
	v_mul_f64 v[12:13], v[152:153], s[38:39]
	v_add_f64 v[2:3], v[14:15], v[2:3]
	v_mul_f64 v[14:15], v[160:161], s[42:43]
	s_delay_alu instid0(VALU_DEP_4) | instskip(NEXT) | instid1(VALU_DEP_2)
	v_add_f64 v[6:7], v[8:9], v[6:7]
	v_fma_f64 v[130:131], v[128:129], s[28:29], v[14:15]
	v_fma_f64 v[8:9], v[128:129], s[28:29], -v[14:15]
	v_mul_f64 v[14:15], v[154:155], s[38:39]
	s_delay_alu instid0(VALU_DEP_3) | instskip(SKIP_1) | instid1(VALU_DEP_4)
	v_add_f64 v[0:1], v[130:131], v[0:1]
	v_add_f64 v[130:131], v[50:51], v[88:89]
	;; [unrolled: 1-line block ×4, first 2 shown]
	s_delay_alu instid0(VALU_DEP_3) | instskip(SKIP_1) | instid1(VALU_DEP_3)
	v_fma_f64 v[132:133], v[130:131], s[28:29], -v[198:199]
	v_fma_f64 v[8:9], v[130:131], s[28:29], v[198:199]
	v_add_f64 v[50:51], v[50:51], v[82:83]
	s_delay_alu instid0(VALU_DEP_3) | instskip(SKIP_1) | instid1(VALU_DEP_4)
	v_add_f64 v[2:3], v[132:133], v[2:3]
	v_add_f64 v[132:133], v[84:85], v[48:49]
	;; [unrolled: 1-line block ×5, first 2 shown]
	s_delay_alu instid0(VALU_DEP_4) | instskip(SKIP_1) | instid1(VALU_DEP_3)
	v_fma_f64 v[134:135], v[132:133], s[24:25], v[200:201]
	v_fma_f64 v[8:9], v[132:133], s[24:25], -v[200:201]
	v_add_f64 v[50:51], v[50:51], v[66:67]
	s_delay_alu instid0(VALU_DEP_3) | instskip(SKIP_1) | instid1(VALU_DEP_4)
	v_add_f64 v[0:1], v[134:135], v[0:1]
	v_add_f64 v[134:135], v[82:83], v[54:55]
	v_add_f64 v[4:5], v[8:9], v[4:5]
	s_delay_alu instid0(VALU_DEP_4) | instskip(NEXT) | instid1(VALU_DEP_3)
	v_add_f64 v[50:51], v[50:51], v[72:73]
	v_fma_f64 v[136:137], v[134:135], s[24:25], -v[202:203]
	v_fma_f64 v[8:9], v[134:135], s[24:25], v[202:203]
	s_delay_alu instid0(VALU_DEP_3) | instskip(NEXT) | instid1(VALU_DEP_3)
	v_add_f64 v[50:51], v[50:51], v[62:63]
	v_add_f64 v[2:3], v[136:137], v[2:3]
	;; [unrolled: 1-line block ×3, first 2 shown]
	s_delay_alu instid0(VALU_DEP_4) | instskip(SKIP_2) | instid1(VALU_DEP_4)
	v_add_f64 v[6:7], v[8:9], v[6:7]
	v_add_f64 v[80:81], v[84:85], v[80:81]
	;; [unrolled: 1-line block ×3, first 2 shown]
	v_fma_f64 v[138:139], v[136:137], s[26:27], v[204:205]
	v_fma_f64 v[8:9], v[136:137], s[26:27], -v[204:205]
	s_delay_alu instid0(VALU_DEP_3) | instskip(NEXT) | instid1(VALU_DEP_3)
	v_add_f64 v[50:51], v[50:51], v[58:59]
	v_add_f64 v[0:1], v[138:139], v[0:1]
	;; [unrolled: 1-line block ×3, first 2 shown]
	s_delay_alu instid0(VALU_DEP_4) | instskip(NEXT) | instid1(VALU_DEP_4)
	v_add_f64 v[4:5], v[8:9], v[4:5]
	v_add_f64 v[50:51], v[50:51], v[54:55]
	s_delay_alu instid0(VALU_DEP_3) | instskip(SKIP_1) | instid1(VALU_DEP_3)
	v_fma_f64 v[140:141], v[138:139], s[26:27], -v[206:207]
	v_fma_f64 v[8:9], v[138:139], s[26:27], v[206:207]
	v_add_f64 v[50:51], v[50:51], v[88:89]
	s_delay_alu instid0(VALU_DEP_3) | instskip(SKIP_1) | instid1(VALU_DEP_4)
	v_add_f64 v[2:3], v[140:141], v[2:3]
	v_add_f64 v[140:141], v[76:77], v[56:57]
	;; [unrolled: 1-line block ×5, first 2 shown]
	s_delay_alu instid0(VALU_DEP_4) | instskip(SKIP_1) | instid1(VALU_DEP_2)
	v_fma_f64 v[142:143], v[140:141], s[18:19], v[208:209]
	v_fma_f64 v[8:9], v[140:141], s[18:19], -v[208:209]
	v_add_f64 v[0:1], v[142:143], v[0:1]
	v_add_f64 v[142:143], v[66:67], v[74:75]
	s_delay_alu instid0(VALU_DEP_3) | instskip(NEXT) | instid1(VALU_DEP_2)
	v_add_f64 v[4:5], v[8:9], v[4:5]
	v_fma_f64 v[144:145], v[142:143], s[18:19], -v[210:211]
	v_fma_f64 v[8:9], v[142:143], s[18:19], v[210:211]
	s_delay_alu instid0(VALU_DEP_2) | instskip(SKIP_1) | instid1(VALU_DEP_3)
	v_add_f64 v[212:213], v[144:145], v[2:3]
	v_add_f64 v[144:145], v[60:61], v[64:65]
	;; [unrolled: 1-line block ×4, first 2 shown]
	s_delay_alu instid0(VALU_DEP_3) | instskip(SKIP_2) | instid1(VALU_DEP_4)
	v_fma_f64 v[6:7], v[144:145], s[20:21], -v[214:215]
	v_fma_f64 v[2:3], v[144:145], s[20:21], v[214:215]
	v_mul_f64 v[214:215], v[180:181], s[10:11]
	v_add_f64 v[60:61], v[60:61], v[64:65]
	s_delay_alu instid0(VALU_DEP_4)
	v_add_f64 v[6:7], v[6:7], v[4:5]
	v_add_f64 v[4:5], v[10:11], v[8:9]
	v_fma_f64 v[8:9], v[120:121], s[26:27], v[12:13]
	v_fma_f64 v[10:11], v[122:123], s[26:27], -v[14:15]
	v_fma_f64 v[12:13], v[120:121], s[26:27], -v[12:13]
	v_fma_f64 v[14:15], v[122:123], s[26:27], v[14:15]
	v_add_f64 v[2:3], v[2:3], v[0:1]
	v_fma_f64 v[0:1], v[146:147], s[20:21], -v[216:217]
	v_mul_f64 v[216:217], v[182:183], s[10:11]
	v_add_f64 v[56:57], v[60:61], v[56:57]
	v_add_f64 v[8:9], v[8:9], v[190:191]
	v_fma_f64 v[190:191], v[124:125], s[20:21], v[188:189]
	v_add_f64 v[10:11], v[10:11], v[192:193]
	v_add_f64 v[12:13], v[12:13], v[194:195]
	v_fma_f64 v[188:189], v[124:125], s[20:21], -v[188:189]
	v_add_f64 v[14:15], v[14:15], v[196:197]
	v_add_f64 v[0:1], v[0:1], v[212:213]
	;; [unrolled: 1-line block ×4, first 2 shown]
	v_mul_f64 v[190:191], v[158:159], s[12:13]
	v_add_f64 v[12:13], v[188:189], v[12:13]
	s_delay_alu instid0(VALU_DEP_4) | instskip(SKIP_1) | instid1(VALU_DEP_4)
	v_add_f64 v[48:49], v[52:53], v[48:49]
	v_add_f64 v[52:53], v[50:51], v[104:105]
	v_fma_f64 v[192:193], v[126:127], s[20:21], -v[190:191]
	v_fma_f64 v[188:189], v[126:127], s[20:21], v[190:191]
	v_fma_f64 v[190:191], v[146:147], s[18:19], v[216:217]
	v_add_f64 v[48:49], v[48:49], v[90:91]
	s_delay_alu instid0(VALU_DEP_4) | instskip(SKIP_2) | instid1(VALU_DEP_4)
	v_add_f64 v[10:11], v[192:193], v[10:11]
	v_mul_f64 v[192:193], v[160:161], s[48:49]
	v_add_f64 v[14:15], v[188:189], v[14:15]
	v_add_f64 v[48:49], v[48:49], v[98:99]
	s_delay_alu instid0(VALU_DEP_3) | instskip(SKIP_1) | instid1(VALU_DEP_3)
	v_fma_f64 v[198:199], v[128:129], s[24:25], v[192:193]
	v_fma_f64 v[188:189], v[128:129], s[24:25], -v[192:193]
	v_add_f64 v[48:49], v[48:49], v[106:107]
	s_delay_alu instid0(VALU_DEP_3) | instskip(SKIP_1) | instid1(VALU_DEP_4)
	v_add_f64 v[8:9], v[198:199], v[8:9]
	v_mul_f64 v[198:199], v[162:163], s[48:49]
	v_add_f64 v[12:13], v[188:189], v[12:13]
	s_delay_alu instid0(VALU_DEP_4) | instskip(SKIP_1) | instid1(VALU_DEP_4)
	v_add_f64 v[50:51], v[48:49], v[102:103]
	v_add_f64 v[48:49], v[52:53], v[100:101]
	v_fma_f64 v[200:201], v[130:131], s[24:25], -v[198:199]
	v_fma_f64 v[188:189], v[130:131], s[24:25], v[198:199]
	s_delay_alu instid0(VALU_DEP_2) | instskip(SKIP_1) | instid1(VALU_DEP_3)
	v_add_f64 v[10:11], v[200:201], v[10:11]
	v_mul_f64 v[200:201], v[164:165], s[40:41]
	v_add_f64 v[14:15], v[188:189], v[14:15]
	s_delay_alu instid0(VALU_DEP_2) | instskip(SKIP_1) | instid1(VALU_DEP_2)
	v_fma_f64 v[202:203], v[132:133], s[34:35], v[200:201]
	v_fma_f64 v[188:189], v[132:133], s[34:35], -v[200:201]
	v_add_f64 v[8:9], v[202:203], v[8:9]
	v_mul_f64 v[202:203], v[166:167], s[40:41]
	s_delay_alu instid0(VALU_DEP_3) | instskip(NEXT) | instid1(VALU_DEP_2)
	v_add_f64 v[12:13], v[188:189], v[12:13]
	v_fma_f64 v[204:205], v[134:135], s[34:35], -v[202:203]
	v_fma_f64 v[188:189], v[134:135], s[34:35], v[202:203]
	s_delay_alu instid0(VALU_DEP_2) | instskip(SKIP_1) | instid1(VALU_DEP_3)
	v_add_f64 v[10:11], v[204:205], v[10:11]
	v_mul_f64 v[204:205], v[168:169], s[0:1]
	v_add_f64 v[14:15], v[188:189], v[14:15]
	s_delay_alu instid0(VALU_DEP_2) | instskip(SKIP_1) | instid1(VALU_DEP_2)
	v_fma_f64 v[206:207], v[136:137], s[30:31], v[204:205]
	v_fma_f64 v[188:189], v[136:137], s[30:31], -v[204:205]
	v_add_f64 v[8:9], v[206:207], v[8:9]
	v_mul_f64 v[206:207], v[170:171], s[0:1]
	s_delay_alu instid0(VALU_DEP_3) | instskip(NEXT) | instid1(VALU_DEP_2)
	;; [unrolled: 13-line block ×3, first 2 shown]
	v_add_f64 v[12:13], v[188:189], v[12:13]
	v_fma_f64 v[188:189], v[142:143], s[28:29], v[210:211]
	v_fma_f64 v[212:213], v[142:143], s[28:29], -v[210:211]
	s_delay_alu instid0(VALU_DEP_2) | instskip(SKIP_1) | instid1(VALU_DEP_3)
	v_add_f64 v[188:189], v[188:189], v[14:15]
	v_fma_f64 v[14:15], v[144:145], s[18:19], -v[214:215]
	v_add_f64 v[212:213], v[212:213], v[10:11]
	v_fma_f64 v[10:11], v[144:145], s[18:19], v[214:215]
	s_delay_alu instid0(VALU_DEP_3) | instskip(SKIP_2) | instid1(VALU_DEP_4)
	v_add_f64 v[14:15], v[14:15], v[12:13]
	v_add_f64 v[12:13], v[190:191], v[188:189]
	v_mul_f64 v[188:189], v[152:153], s[46:47]
	v_add_f64 v[10:11], v[10:11], v[8:9]
	v_fma_f64 v[8:9], v[146:147], s[18:19], -v[216:217]
	s_delay_alu instid0(VALU_DEP_3) | instskip(SKIP_1) | instid1(VALU_DEP_3)
	v_fma_f64 v[190:191], v[120:121], s[18:19], v[188:189]
	v_fma_f64 v[188:189], v[120:121], s[18:19], -v[188:189]
	v_add_f64 v[8:9], v[8:9], v[212:213]
	s_delay_alu instid0(VALU_DEP_3) | instskip(SKIP_1) | instid1(VALU_DEP_4)
	v_add_f64 v[18:19], v[190:191], v[18:19]
	v_mul_f64 v[190:191], v[154:155], s[46:47]
	v_add_f64 v[22:23], v[188:189], v[22:23]
	s_delay_alu instid0(VALU_DEP_2) | instskip(SKIP_1) | instid1(VALU_DEP_2)
	v_fma_f64 v[192:193], v[122:123], s[18:19], -v[190:191]
	v_fma_f64 v[188:189], v[122:123], s[18:19], v[190:191]
	v_add_f64 v[16:17], v[192:193], v[16:17]
	v_mul_f64 v[192:193], v[156:157], s[40:41]
	s_delay_alu instid0(VALU_DEP_3) | instskip(NEXT) | instid1(VALU_DEP_2)
	v_add_f64 v[20:21], v[188:189], v[20:21]
	v_fma_f64 v[194:195], v[124:125], s[34:35], v[192:193]
	v_fma_f64 v[188:189], v[124:125], s[34:35], -v[192:193]
	s_delay_alu instid0(VALU_DEP_2) | instskip(SKIP_1) | instid1(VALU_DEP_3)
	v_add_f64 v[18:19], v[194:195], v[18:19]
	v_mul_f64 v[194:195], v[158:159], s[40:41]
	v_add_f64 v[22:23], v[188:189], v[22:23]
	s_delay_alu instid0(VALU_DEP_2) | instskip(SKIP_1) | instid1(VALU_DEP_2)
	v_fma_f64 v[196:197], v[126:127], s[34:35], -v[194:195]
	v_fma_f64 v[188:189], v[126:127], s[34:35], v[194:195]
	v_add_f64 v[16:17], v[196:197], v[16:17]
	v_mul_f64 v[196:197], v[160:161], s[2:3]
	s_delay_alu instid0(VALU_DEP_3) | instskip(NEXT) | instid1(VALU_DEP_2)
	v_add_f64 v[20:21], v[188:189], v[20:21]
	v_fma_f64 v[198:199], v[128:129], s[22:23], v[196:197]
	v_fma_f64 v[188:189], v[128:129], s[22:23], -v[196:197]
	s_delay_alu instid0(VALU_DEP_2) | instskip(SKIP_1) | instid1(VALU_DEP_3)
	;; [unrolled: 13-line block ×6, first 2 shown]
	v_add_f64 v[18:19], v[214:215], v[18:19]
	v_mul_f64 v[214:215], v[182:183], s[38:39]
	v_add_f64 v[22:23], v[188:189], v[22:23]
	v_mul_f64 v[188:189], v[152:153], s[50:51]
	s_delay_alu instid0(VALU_DEP_3) | instskip(SKIP_1) | instid1(VALU_DEP_2)
	v_fma_f64 v[190:191], v[146:147], s[26:27], v[214:215]
	v_fma_f64 v[216:217], v[146:147], s[26:27], -v[214:215]
	v_add_f64 v[20:21], v[190:191], v[20:21]
	s_delay_alu instid0(VALU_DEP_4) | instskip(SKIP_1) | instid1(VALU_DEP_4)
	v_fma_f64 v[190:191], v[120:121], s[22:23], v[188:189]
	v_fma_f64 v[188:189], v[120:121], s[22:23], -v[188:189]
	v_add_f64 v[16:17], v[216:217], v[16:17]
	s_delay_alu instid0(VALU_DEP_3) | instskip(SKIP_1) | instid1(VALU_DEP_4)
	v_add_f64 v[26:27], v[190:191], v[26:27]
	v_mul_f64 v[190:191], v[154:155], s[50:51]
	v_add_f64 v[30:31], v[188:189], v[30:31]
	s_delay_alu instid0(VALU_DEP_2) | instskip(SKIP_1) | instid1(VALU_DEP_2)
	v_fma_f64 v[192:193], v[122:123], s[22:23], -v[190:191]
	v_fma_f64 v[188:189], v[122:123], s[22:23], v[190:191]
	v_add_f64 v[24:25], v[192:193], v[24:25]
	v_mul_f64 v[192:193], v[156:157], s[42:43]
	s_delay_alu instid0(VALU_DEP_3) | instskip(NEXT) | instid1(VALU_DEP_2)
	v_add_f64 v[28:29], v[188:189], v[28:29]
	v_fma_f64 v[194:195], v[124:125], s[28:29], v[192:193]
	v_fma_f64 v[188:189], v[124:125], s[28:29], -v[192:193]
	s_delay_alu instid0(VALU_DEP_2) | instskip(SKIP_1) | instid1(VALU_DEP_3)
	v_add_f64 v[26:27], v[194:195], v[26:27]
	v_mul_f64 v[194:195], v[158:159], s[42:43]
	v_add_f64 v[30:31], v[188:189], v[30:31]
	s_delay_alu instid0(VALU_DEP_2) | instskip(SKIP_1) | instid1(VALU_DEP_2)
	v_fma_f64 v[196:197], v[126:127], s[28:29], -v[194:195]
	v_fma_f64 v[188:189], v[126:127], s[28:29], v[194:195]
	v_add_f64 v[24:25], v[196:197], v[24:25]
	v_mul_f64 v[196:197], v[160:161], s[14:15]
	s_delay_alu instid0(VALU_DEP_3) | instskip(NEXT) | instid1(VALU_DEP_2)
	v_add_f64 v[28:29], v[188:189], v[28:29]
	v_fma_f64 v[198:199], v[128:129], s[26:27], v[196:197]
	v_fma_f64 v[188:189], v[128:129], s[26:27], -v[196:197]
	s_delay_alu instid0(VALU_DEP_2) | instskip(SKIP_1) | instid1(VALU_DEP_3)
	;; [unrolled: 13-line block ×4, first 2 shown]
	v_add_f64 v[26:27], v[206:207], v[26:27]
	v_mul_f64 v[206:207], v[170:171], s[44:45]
	v_add_f64 v[30:31], v[188:189], v[30:31]
	s_mov_b32 s45, 0x3fc7851a
	s_mov_b32 s44, s0
	s_delay_alu instid0(SALU_CYCLE_1) | instskip(SKIP_1) | instid1(VALU_DEP_4)
	v_mul_f64 v[240:241], v[156:157], s[44:45]
	v_mul_f64 v[234:235], v[158:159], s[44:45]
	v_fma_f64 v[208:209], v[138:139], s[20:21], -v[206:207]
	v_fma_f64 v[188:189], v[138:139], s[20:21], v[206:207]
	s_delay_alu instid0(VALU_DEP_2) | instskip(SKIP_1) | instid1(VALU_DEP_3)
	v_add_f64 v[24:25], v[208:209], v[24:25]
	v_mul_f64 v[208:209], v[176:177], s[40:41]
	v_add_f64 v[28:29], v[188:189], v[28:29]
	s_delay_alu instid0(VALU_DEP_2) | instskip(SKIP_1) | instid1(VALU_DEP_2)
	v_fma_f64 v[210:211], v[140:141], s[34:35], v[208:209]
	v_fma_f64 v[188:189], v[140:141], s[34:35], -v[208:209]
	v_add_f64 v[26:27], v[210:211], v[26:27]
	v_mul_f64 v[210:211], v[178:179], s[40:41]
	s_delay_alu instid0(VALU_DEP_3) | instskip(NEXT) | instid1(VALU_DEP_2)
	v_add_f64 v[30:31], v[188:189], v[30:31]
	v_fma_f64 v[212:213], v[142:143], s[34:35], -v[210:211]
	v_fma_f64 v[188:189], v[142:143], s[34:35], v[210:211]
	s_delay_alu instid0(VALU_DEP_2) | instskip(SKIP_1) | instid1(VALU_DEP_3)
	v_add_f64 v[24:25], v[212:213], v[24:25]
	v_mul_f64 v[212:213], v[180:181], s[6:7]
	v_add_f64 v[28:29], v[188:189], v[28:29]
	s_delay_alu instid0(VALU_DEP_2) | instskip(SKIP_1) | instid1(VALU_DEP_2)
	v_fma_f64 v[214:215], v[144:145], s[24:25], v[212:213]
	v_fma_f64 v[188:189], v[144:145], s[24:25], -v[212:213]
	v_add_f64 v[26:27], v[214:215], v[26:27]
	v_mul_f64 v[214:215], v[182:183], s[6:7]
	s_delay_alu instid0(VALU_DEP_3) | instskip(SKIP_1) | instid1(VALU_DEP_3)
	v_add_f64 v[30:31], v[188:189], v[30:31]
	v_mul_f64 v[188:189], v[152:153], s[0:1]
	v_fma_f64 v[190:191], v[146:147], s[24:25], v[214:215]
	v_fma_f64 v[216:217], v[146:147], s[24:25], -v[214:215]
	s_delay_alu instid0(VALU_DEP_2) | instskip(NEXT) | instid1(VALU_DEP_4)
	v_add_f64 v[28:29], v[190:191], v[28:29]
	v_fma_f64 v[190:191], v[120:121], s[30:31], v[188:189]
	v_fma_f64 v[188:189], v[120:121], s[30:31], -v[188:189]
	s_delay_alu instid0(VALU_DEP_4) | instskip(NEXT) | instid1(VALU_DEP_3)
	v_add_f64 v[24:25], v[216:217], v[24:25]
	v_add_f64 v[34:35], v[190:191], v[34:35]
	v_mul_f64 v[190:191], v[154:155], s[0:1]
	s_delay_alu instid0(VALU_DEP_4) | instskip(NEXT) | instid1(VALU_DEP_2)
	v_add_f64 v[38:39], v[188:189], v[38:39]
	v_fma_f64 v[192:193], v[122:123], s[30:31], -v[190:191]
	v_fma_f64 v[188:189], v[122:123], s[30:31], v[190:191]
	s_delay_alu instid0(VALU_DEP_2) | instskip(SKIP_1) | instid1(VALU_DEP_3)
	v_add_f64 v[32:33], v[192:193], v[32:33]
	v_mul_f64 v[192:193], v[156:157], s[46:47]
	v_add_f64 v[36:37], v[188:189], v[36:37]
	s_delay_alu instid0(VALU_DEP_2) | instskip(SKIP_1) | instid1(VALU_DEP_2)
	v_fma_f64 v[194:195], v[124:125], s[18:19], v[192:193]
	v_fma_f64 v[188:189], v[124:125], s[18:19], -v[192:193]
	v_add_f64 v[34:35], v[194:195], v[34:35]
	v_mul_f64 v[194:195], v[158:159], s[46:47]
	s_delay_alu instid0(VALU_DEP_3) | instskip(NEXT) | instid1(VALU_DEP_2)
	v_add_f64 v[38:39], v[188:189], v[38:39]
	v_fma_f64 v[196:197], v[126:127], s[18:19], -v[194:195]
	v_fma_f64 v[188:189], v[126:127], s[18:19], v[194:195]
	s_delay_alu instid0(VALU_DEP_2) | instskip(SKIP_1) | instid1(VALU_DEP_3)
	v_add_f64 v[32:33], v[196:197], v[32:33]
	v_mul_f64 v[196:197], v[160:161], s[36:37]
	v_add_f64 v[36:37], v[188:189], v[36:37]
	s_delay_alu instid0(VALU_DEP_2) | instskip(SKIP_1) | instid1(VALU_DEP_2)
	v_fma_f64 v[198:199], v[128:129], s[34:35], v[196:197]
	v_fma_f64 v[188:189], v[128:129], s[34:35], -v[196:197]
	v_add_f64 v[34:35], v[198:199], v[34:35]
	v_mul_f64 v[198:199], v[162:163], s[36:37]
	s_delay_alu instid0(VALU_DEP_3) | instskip(NEXT) | instid1(VALU_DEP_2)
	;; [unrolled: 13-line block ×3, first 2 shown]
	v_add_f64 v[38:39], v[188:189], v[38:39]
	v_fma_f64 v[204:205], v[134:135], s[26:27], -v[202:203]
	v_fma_f64 v[188:189], v[134:135], s[26:27], v[202:203]
	s_delay_alu instid0(VALU_DEP_2) | instskip(SKIP_1) | instid1(VALU_DEP_3)
	v_add_f64 v[32:33], v[204:205], v[32:33]
	v_mul_f64 v[204:205], v[168:169], s[2:3]
	v_add_f64 v[36:37], v[188:189], v[36:37]
	s_delay_alu instid0(VALU_DEP_2) | instskip(SKIP_2) | instid1(VALU_DEP_3)
	v_fma_f64 v[206:207], v[136:137], s[22:23], v[204:205]
	v_fma_f64 v[188:189], v[136:137], s[22:23], -v[204:205]
	v_mul_f64 v[204:205], v[178:179], s[12:13]
	v_add_f64 v[34:35], v[206:207], v[34:35]
	v_mul_f64 v[206:207], v[170:171], s[2:3]
	s_delay_alu instid0(VALU_DEP_4) | instskip(NEXT) | instid1(VALU_DEP_2)
	v_add_f64 v[38:39], v[188:189], v[38:39]
	v_fma_f64 v[208:209], v[138:139], s[22:23], -v[206:207]
	v_fma_f64 v[188:189], v[138:139], s[22:23], v[206:207]
	v_mul_f64 v[206:207], v[180:181], s[2:3]
	s_delay_alu instid0(VALU_DEP_3) | instskip(SKIP_1) | instid1(VALU_DEP_4)
	v_add_f64 v[32:33], v[208:209], v[32:33]
	v_mul_f64 v[208:209], v[176:177], s[48:49]
	v_add_f64 v[36:37], v[188:189], v[36:37]
	s_delay_alu instid0(VALU_DEP_2) | instskip(SKIP_2) | instid1(VALU_DEP_3)
	v_fma_f64 v[210:211], v[140:141], s[24:25], v[208:209]
	v_fma_f64 v[188:189], v[140:141], s[24:25], -v[208:209]
	v_mul_f64 v[208:209], v[182:183], s[2:3]
	v_add_f64 v[34:35], v[210:211], v[34:35]
	v_mul_f64 v[210:211], v[178:179], s[48:49]
	s_delay_alu instid0(VALU_DEP_4) | instskip(NEXT) | instid1(VALU_DEP_2)
	v_add_f64 v[38:39], v[188:189], v[38:39]
	v_fma_f64 v[212:213], v[142:143], s[24:25], -v[210:211]
	v_fma_f64 v[188:189], v[142:143], s[24:25], v[210:211]
	s_delay_alu instid0(VALU_DEP_2) | instskip(SKIP_1) | instid1(VALU_DEP_3)
	v_add_f64 v[32:33], v[212:213], v[32:33]
	v_mul_f64 v[212:213], v[180:181], s[42:43]
	v_add_f64 v[36:37], v[188:189], v[36:37]
	s_delay_alu instid0(VALU_DEP_2) | instskip(SKIP_1) | instid1(VALU_DEP_2)
	v_fma_f64 v[188:189], v[144:145], s[28:29], -v[212:213]
	v_fma_f64 v[214:215], v[144:145], s[28:29], v[212:213]
	v_add_f64 v[38:39], v[188:189], v[38:39]
	v_fma_f64 v[188:189], v[120:121], s[24:25], -v[245:246]
	s_delay_alu instid0(VALU_DEP_3) | instskip(SKIP_2) | instid1(VALU_DEP_4)
	v_add_f64 v[34:35], v[214:215], v[34:35]
	v_mul_f64 v[214:215], v[182:183], s[42:43]
	v_fma_f64 v[245:246], v[120:121], s[24:25], v[245:246]
	v_add_f64 v[42:43], v[188:189], v[42:43]
	v_fma_f64 v[188:189], v[122:123], s[24:25], v[238:239]
	s_delay_alu instid0(VALU_DEP_4)
	v_fma_f64 v[190:191], v[146:147], s[28:29], v[214:215]
	v_fma_f64 v[216:217], v[146:147], s[28:29], -v[214:215]
	v_fma_f64 v[238:239], v[122:123], s[24:25], -v[238:239]
	v_add_f64 v[186:187], v[245:246], v[186:187]
	v_add_f64 v[40:41], v[188:189], v[40:41]
	v_fma_f64 v[188:189], v[124:125], s[30:31], -v[240:241]
	v_add_f64 v[36:37], v[190:191], v[36:37]
	v_add_f64 v[32:33], v[216:217], v[32:33]
	;; [unrolled: 1-line block ×3, first 2 shown]
	v_fma_f64 v[238:239], v[124:125], s[30:31], v[240:241]
	v_add_f64 v[42:43], v[188:189], v[42:43]
	v_fma_f64 v[188:189], v[126:127], s[30:31], v[234:235]
	v_fma_f64 v[234:235], v[126:127], s[30:31], -v[234:235]
	s_delay_alu instid0(VALU_DEP_4) | instskip(NEXT) | instid1(VALU_DEP_3)
	v_add_f64 v[186:187], v[238:239], v[186:187]
	v_add_f64 v[40:41], v[188:189], v[40:41]
	v_fma_f64 v[188:189], v[128:129], s[18:19], -v[236:237]
	s_delay_alu instid0(VALU_DEP_4) | instskip(SKIP_1) | instid1(VALU_DEP_3)
	v_add_f64 v[184:185], v[234:235], v[184:185]
	v_fma_f64 v[234:235], v[128:129], s[18:19], v[236:237]
	v_add_f64 v[42:43], v[188:189], v[42:43]
	v_fma_f64 v[188:189], v[130:131], s[18:19], v[230:231]
	v_fma_f64 v[230:231], v[130:131], s[18:19], -v[230:231]
	s_delay_alu instid0(VALU_DEP_4) | instskip(NEXT) | instid1(VALU_DEP_3)
	v_add_f64 v[186:187], v[234:235], v[186:187]
	v_add_f64 v[40:41], v[188:189], v[40:41]
	v_fma_f64 v[188:189], v[132:133], s[28:29], -v[232:233]
	s_delay_alu instid0(VALU_DEP_4) | instskip(SKIP_1) | instid1(VALU_DEP_3)
	v_add_f64 v[184:185], v[230:231], v[184:185]
	;; [unrolled: 10-line block ×4, first 2 shown]
	v_fma_f64 v[222:223], v[140:141], s[20:21], v[224:225]
	v_add_f64 v[42:43], v[188:189], v[42:43]
	v_fma_f64 v[188:189], v[142:143], s[20:21], v[204:205]
	v_fma_f64 v[204:205], v[142:143], s[20:21], -v[204:205]
	s_delay_alu instid0(VALU_DEP_4) | instskip(NEXT) | instid1(VALU_DEP_3)
	v_add_f64 v[186:187], v[222:223], v[186:187]
	v_add_f64 v[40:41], v[188:189], v[40:41]
	v_fma_f64 v[188:189], v[144:145], s[22:23], -v[206:207]
	s_delay_alu instid0(VALU_DEP_4) | instskip(SKIP_2) | instid1(VALU_DEP_4)
	v_add_f64 v[184:185], v[204:205], v[184:185]
	v_fma_f64 v[204:205], v[144:145], s[22:23], v[206:207]
	v_fma_f64 v[206:207], v[146:147], s[22:23], -v[208:209]
	v_add_f64 v[42:43], v[188:189], v[42:43]
	v_fma_f64 v[188:189], v[146:147], s[22:23], v[208:209]
	s_delay_alu instid0(VALU_DEP_4) | instskip(NEXT) | instid1(VALU_DEP_4)
	v_add_f64 v[186:187], v[204:205], v[186:187]
	v_add_f64 v[184:185], v[206:207], v[184:185]
	s_delay_alu instid0(VALU_DEP_3) | instskip(SKIP_2) | instid1(VALU_DEP_2)
	v_add_f64 v[40:41], v[188:189], v[40:41]
	v_mul_f64 v[188:189], v[152:153], s[12:13]
	v_mul_f64 v[152:153], v[152:153], s[16:17]
	v_fma_f64 v[190:191], v[120:121], s[20:21], -v[188:189]
	v_fma_f64 v[188:189], v[120:121], s[20:21], v[188:189]
	s_delay_alu instid0(VALU_DEP_3) | instskip(NEXT) | instid1(VALU_DEP_3)
	v_fma_f64 v[52:53], v[120:121], s[28:29], v[152:153]
	v_add_f64 v[46:47], v[190:191], v[46:47]
	v_mul_f64 v[190:191], v[154:155], s[12:13]
	s_delay_alu instid0(VALU_DEP_4) | instskip(SKIP_2) | instid1(VALU_DEP_4)
	v_add_f64 v[174:175], v[188:189], v[174:175]
	v_mul_f64 v[154:155], v[154:155], s[16:17]
	v_add_f64 v[52:53], v[52:53], v[112:113]
	v_fma_f64 v[192:193], v[122:123], s[20:21], v[190:191]
	v_fma_f64 v[188:189], v[122:123], s[20:21], -v[190:191]
	s_delay_alu instid0(VALU_DEP_4) | instskip(NEXT) | instid1(VALU_DEP_3)
	v_fma_f64 v[54:55], v[122:123], s[28:29], -v[154:155]
	v_add_f64 v[44:45], v[192:193], v[44:45]
	v_mul_f64 v[192:193], v[156:157], s[6:7]
	s_delay_alu instid0(VALU_DEP_4) | instskip(SKIP_2) | instid1(VALU_DEP_4)
	v_add_f64 v[172:173], v[188:189], v[172:173]
	v_mul_f64 v[156:157], v[156:157], s[14:15]
	v_add_f64 v[54:55], v[54:55], v[114:115]
	v_fma_f64 v[194:195], v[124:125], s[24:25], -v[192:193]
	v_fma_f64 v[188:189], v[124:125], s[24:25], v[192:193]
	s_delay_alu instid0(VALU_DEP_4) | instskip(NEXT) | instid1(VALU_DEP_3)
	v_fma_f64 v[56:57], v[124:125], s[26:27], v[156:157]
	v_add_f64 v[46:47], v[194:195], v[46:47]
	v_mul_f64 v[194:195], v[158:159], s[6:7]
	s_delay_alu instid0(VALU_DEP_4) | instskip(SKIP_2) | instid1(VALU_DEP_4)
	v_add_f64 v[174:175], v[188:189], v[174:175]
	v_mul_f64 v[158:159], v[158:159], s[14:15]
	v_add_f64 v[52:53], v[56:57], v[52:53]
	v_fma_f64 v[196:197], v[126:127], s[24:25], v[194:195]
	v_fma_f64 v[188:189], v[126:127], s[24:25], -v[194:195]
	s_delay_alu instid0(VALU_DEP_4) | instskip(NEXT) | instid1(VALU_DEP_3)
	v_fma_f64 v[58:59], v[126:127], s[26:27], -v[158:159]
	v_add_f64 v[44:45], v[196:197], v[44:45]
	v_mul_f64 v[196:197], v[160:161], s[0:1]
	s_delay_alu instid0(VALU_DEP_4) | instskip(SKIP_2) | instid1(VALU_DEP_4)
	v_add_f64 v[172:173], v[188:189], v[172:173]
	v_mul_f64 v[160:161], v[160:161], s[12:13]
	v_add_f64 v[54:55], v[58:59], v[54:55]
	v_fma_f64 v[198:199], v[128:129], s[30:31], -v[196:197]
	v_fma_f64 v[188:189], v[128:129], s[30:31], v[196:197]
	s_delay_alu instid0(VALU_DEP_4) | instskip(NEXT) | instid1(VALU_DEP_3)
	v_fma_f64 v[60:61], v[128:129], s[20:21], v[160:161]
	v_add_f64 v[46:47], v[198:199], v[46:47]
	v_mul_f64 v[198:199], v[162:163], s[0:1]
	s_delay_alu instid0(VALU_DEP_4) | instskip(SKIP_2) | instid1(VALU_DEP_4)
	v_add_f64 v[174:175], v[188:189], v[174:175]
	v_mul_f64 v[162:163], v[162:163], s[12:13]
	v_add_f64 v[52:53], v[60:61], v[52:53]
	v_fma_f64 v[200:201], v[130:131], s[30:31], v[198:199]
	v_fma_f64 v[188:189], v[130:131], s[30:31], -v[198:199]
	s_delay_alu instid0(VALU_DEP_4) | instskip(NEXT) | instid1(VALU_DEP_3)
	v_fma_f64 v[62:63], v[130:131], s[20:21], -v[162:163]
	v_add_f64 v[44:45], v[200:201], v[44:45]
	v_mul_f64 v[200:201], v[164:165], s[50:51]
	s_delay_alu instid0(VALU_DEP_4) | instskip(SKIP_2) | instid1(VALU_DEP_4)
	v_add_f64 v[172:173], v[188:189], v[172:173]
	v_mul_f64 v[164:165], v[164:165], s[10:11]
	v_add_f64 v[54:55], v[62:63], v[54:55]
	v_fma_f64 v[202:203], v[132:133], s[22:23], -v[200:201]
	v_fma_f64 v[188:189], v[132:133], s[22:23], v[200:201]
	s_delay_alu instid0(VALU_DEP_4) | instskip(NEXT) | instid1(VALU_DEP_3)
	v_fma_f64 v[56:57], v[132:133], s[18:19], v[164:165]
	v_add_f64 v[46:47], v[202:203], v[46:47]
	v_mul_f64 v[202:203], v[166:167], s[50:51]
	s_delay_alu instid0(VALU_DEP_4) | instskip(SKIP_2) | instid1(VALU_DEP_4)
	v_add_f64 v[174:175], v[188:189], v[174:175]
	v_mul_f64 v[166:167], v[166:167], s[10:11]
	v_add_f64 v[52:53], v[56:57], v[52:53]
	v_fma_f64 v[210:211], v[134:135], s[22:23], v[202:203]
	v_fma_f64 v[188:189], v[134:135], s[22:23], -v[202:203]
	s_delay_alu instid0(VALU_DEP_4) | instskip(NEXT) | instid1(VALU_DEP_3)
	v_fma_f64 v[58:59], v[134:135], s[18:19], -v[166:167]
	v_add_f64 v[44:45], v[210:211], v[44:45]
	v_mul_f64 v[210:211], v[168:169], s[46:47]
	s_delay_alu instid0(VALU_DEP_4) | instskip(SKIP_2) | instid1(VALU_DEP_4)
	v_add_f64 v[172:173], v[188:189], v[172:173]
	v_mul_f64 v[168:169], v[168:169], s[6:7]
	v_add_f64 v[54:55], v[58:59], v[54:55]
	v_fma_f64 v[212:213], v[136:137], s[18:19], -v[210:211]
	v_fma_f64 v[188:189], v[136:137], s[18:19], v[210:211]
	s_delay_alu instid0(VALU_DEP_4) | instskip(NEXT) | instid1(VALU_DEP_3)
	v_fma_f64 v[60:61], v[136:137], s[24:25], v[168:169]
	v_add_f64 v[46:47], v[212:213], v[46:47]
	v_mul_f64 v[212:213], v[170:171], s[46:47]
	s_delay_alu instid0(VALU_DEP_4) | instskip(SKIP_2) | instid1(VALU_DEP_4)
	v_add_f64 v[174:175], v[188:189], v[174:175]
	v_mul_f64 v[170:171], v[170:171], s[6:7]
	v_add_f64 v[52:53], v[60:61], v[52:53]
	v_fma_f64 v[214:215], v[138:139], s[18:19], v[212:213]
	v_fma_f64 v[188:189], v[138:139], s[18:19], -v[212:213]
	s_delay_alu instid0(VALU_DEP_4) | instskip(NEXT) | instid1(VALU_DEP_3)
	v_fma_f64 v[62:63], v[138:139], s[24:25], -v[170:171]
	v_add_f64 v[44:45], v[214:215], v[44:45]
	v_mul_f64 v[214:215], v[176:177], s[38:39]
	s_delay_alu instid0(VALU_DEP_4) | instskip(SKIP_2) | instid1(VALU_DEP_4)
	v_add_f64 v[172:173], v[188:189], v[172:173]
	v_mul_f64 v[176:177], v[176:177], s[2:3]
	v_add_f64 v[54:55], v[62:63], v[54:55]
	v_fma_f64 v[216:217], v[140:141], s[26:27], -v[214:215]
	v_fma_f64 v[188:189], v[140:141], s[26:27], v[214:215]
	s_delay_alu instid0(VALU_DEP_4) | instskip(NEXT) | instid1(VALU_DEP_3)
	v_fma_f64 v[56:57], v[140:141], s[22:23], v[176:177]
	v_add_f64 v[46:47], v[216:217], v[46:47]
	v_mul_f64 v[216:217], v[178:179], s[38:39]
	s_delay_alu instid0(VALU_DEP_4) | instskip(SKIP_2) | instid1(VALU_DEP_4)
	v_add_f64 v[174:175], v[188:189], v[174:175]
	v_mul_f64 v[178:179], v[178:179], s[2:3]
	v_add_f64 v[52:53], v[56:57], v[52:53]
	v_fma_f64 v[218:219], v[142:143], s[26:27], v[216:217]
	v_fma_f64 v[188:189], v[142:143], s[26:27], -v[216:217]
	s_delay_alu instid0(VALU_DEP_4) | instskip(NEXT) | instid1(VALU_DEP_3)
	v_fma_f64 v[58:59], v[142:143], s[22:23], -v[178:179]
	v_add_f64 v[44:45], v[218:219], v[44:45]
	v_mul_f64 v[218:219], v[180:181], s[36:37]
	s_delay_alu instid0(VALU_DEP_4) | instskip(SKIP_2) | instid1(VALU_DEP_4)
	v_add_f64 v[172:173], v[188:189], v[172:173]
	v_mul_f64 v[180:181], v[180:181], s[0:1]
	v_add_f64 v[56:57], v[58:59], v[54:55]
	v_fma_f64 v[188:189], v[144:145], s[34:35], v[218:219]
	v_fma_f64 v[220:221], v[144:145], s[34:35], -v[218:219]
	s_delay_alu instid0(VALU_DEP_4) | instskip(NEXT) | instid1(VALU_DEP_3)
	v_fma_f64 v[60:61], v[144:145], s[30:31], v[180:181]
	v_add_f64 v[174:175], v[188:189], v[174:175]
	v_fma_f64 v[188:189], v[120:121], s[28:29], -v[152:153]
	s_delay_alu instid0(VALU_DEP_4)
	v_add_f64 v[46:47], v[220:221], v[46:47]
	v_mul_f64 v[220:221], v[182:183], s[36:37]
	v_mul_f64 v[182:183], v[182:183], s[0:1]
	v_add_f64 v[54:55], v[60:61], v[52:53]
	v_add_f64 v[150:151], v[188:189], v[150:151]
	v_fma_f64 v[188:189], v[122:123], s[28:29], v[154:155]
	v_fma_f64 v[247:248], v[146:147], s[34:35], v[220:221]
	v_fma_f64 v[190:191], v[146:147], s[34:35], -v[220:221]
	v_fma_f64 v[62:63], v[146:147], s[30:31], -v[182:183]
	s_delay_alu instid0(VALU_DEP_4) | instskip(SKIP_4) | instid1(VALU_DEP_4)
	v_add_f64 v[148:149], v[188:189], v[148:149]
	v_fma_f64 v[188:189], v[124:125], s[26:27], -v[156:157]
	v_add_f64 v[44:45], v[247:248], v[44:45]
	v_add_f64 v[172:173], v[190:191], v[172:173]
	;; [unrolled: 1-line block ×4, first 2 shown]
	v_fma_f64 v[188:189], v[126:127], s[26:27], v[158:159]
	s_delay_alu instid0(VALU_DEP_1) | instskip(SKIP_1) | instid1(VALU_DEP_1)
	v_add_f64 v[148:149], v[188:189], v[148:149]
	v_fma_f64 v[188:189], v[128:129], s[20:21], -v[160:161]
	v_add_f64 v[150:151], v[188:189], v[150:151]
	v_fma_f64 v[188:189], v[130:131], s[20:21], v[162:163]
	s_delay_alu instid0(VALU_DEP_1) | instskip(SKIP_1) | instid1(VALU_DEP_1)
	v_add_f64 v[148:149], v[188:189], v[148:149]
	v_fma_f64 v[188:189], v[132:133], s[18:19], -v[164:165]
	v_add_f64 v[150:151], v[188:189], v[150:151]
	;; [unrolled: 5-line block ×5, first 2 shown]
	v_fma_f64 v[188:189], v[146:147], s[30:31], v[182:183]
	s_delay_alu instid0(VALU_DEP_1)
	v_add_f64 v[148:149], v[188:189], v[148:149]
	ds_store_b128 v69, v[44:47] offset:512
	ds_store_b128 v69, v[40:43] offset:768
	;; [unrolled: 1-line block ×14, first 2 shown]
	ds_store_b128 v242, v[48:51]
	ds_store_b128 v69, v[148:151] offset:256
	ds_store_b128 v69, v[52:55] offset:4096
.LBB0_14:
	s_or_b32 exec_lo, exec_lo, s33
	s_waitcnt lgkmcnt(0)
	s_barrier
	buffer_gl0_inv
	ds_load_b128 v[0:3], v242
	v_sub_nc_u32_e32 v10, v243, v244
	s_add_u32 s1, s4, 0x1000
	s_addc_u32 s2, s5, 0
	s_mov_b32 s3, exec_lo
                                        ; implicit-def: $vgpr6_vgpr7
                                        ; implicit-def: $vgpr4_vgpr5
                                        ; implicit-def: $vgpr8_vgpr9
	v_cmpx_ne_u32_e32 0, v68
	s_xor_b32 s3, exec_lo, s3
	s_cbranch_execz .LBB0_16
; %bb.15:
	v_mov_b32_e32 v69, 0
	ds_load_b128 v[11:14], v10 offset:4352
	v_lshlrev_b64 v[4:5], 4, v[68:69]
	s_delay_alu instid0(VALU_DEP_1) | instskip(NEXT) | instid1(VALU_DEP_1)
	v_add_co_u32 v4, s0, s1, v4
	v_add_co_ci_u32_e64 v5, s0, s2, v5, s0
	global_load_b128 v[6:9], v[4:5], off
	s_waitcnt lgkmcnt(0)
	v_add_f64 v[4:5], v[0:1], -v[11:12]
	v_add_f64 v[15:16], v[2:3], v[13:14]
	v_add_f64 v[2:3], v[2:3], -v[13:14]
	v_add_f64 v[0:1], v[0:1], v[11:12]
	s_delay_alu instid0(VALU_DEP_4) | instskip(NEXT) | instid1(VALU_DEP_4)
	v_mul_f64 v[4:5], v[4:5], 0.5
	v_mul_f64 v[13:14], v[15:16], 0.5
	s_delay_alu instid0(VALU_DEP_4) | instskip(SKIP_1) | instid1(VALU_DEP_3)
	v_mul_f64 v[2:3], v[2:3], 0.5
	s_waitcnt vmcnt(0)
	v_mul_f64 v[11:12], v[4:5], v[8:9]
	s_delay_alu instid0(VALU_DEP_2) | instskip(SKIP_1) | instid1(VALU_DEP_3)
	v_fma_f64 v[15:16], v[13:14], v[8:9], v[2:3]
	v_fma_f64 v[2:3], v[13:14], v[8:9], -v[2:3]
	v_fma_f64 v[8:9], v[0:1], 0.5, v[11:12]
	v_fma_f64 v[0:1], v[0:1], 0.5, -v[11:12]
	s_delay_alu instid0(VALU_DEP_4) | instskip(NEXT) | instid1(VALU_DEP_4)
	v_fma_f64 v[11:12], -v[6:7], v[4:5], v[15:16]
	v_fma_f64 v[2:3], -v[6:7], v[4:5], v[2:3]
	ds_store_b64 v242, v[11:12] offset:8
	ds_store_b64 v10, v[2:3] offset:4360
	v_fma_f64 v[4:5], v[13:14], v[6:7], v[8:9]
	v_fma_f64 v[6:7], -v[13:14], v[6:7], v[0:1]
	v_dual_mov_b32 v8, v68 :: v_dual_mov_b32 v9, v69
                                        ; implicit-def: $vgpr0_vgpr1
.LBB0_16:
	s_and_not1_saveexec_b32 s0, s3
	s_cbranch_execz .LBB0_18
; %bb.17:
	s_waitcnt lgkmcnt(0)
	v_add_f64 v[4:5], v[0:1], v[2:3]
	v_add_f64 v[6:7], v[0:1], -v[2:3]
	s_mov_b32 s4, 0
	v_mov_b32_e32 v8, 0
	s_mov_b32 s5, s4
	s_delay_alu instid0(SALU_CYCLE_1)
	v_dual_mov_b32 v0, s4 :: v_dual_mov_b32 v1, s5
	v_mov_b32_e32 v9, 0
	ds_store_b64 v242, v[0:1] offset:8
	ds_store_b64 v10, v[0:1] offset:4360
	ds_load_b64 v[0:1], v243 offset:2184
	s_waitcnt lgkmcnt(0)
	v_xor_b32_e32 v1, 0x80000000, v1
	ds_store_b64 v243, v[0:1] offset:2184
.LBB0_18:
	s_or_b32 exec_lo, exec_lo, s0
	s_waitcnt lgkmcnt(0)
	v_lshlrev_b64 v[0:1], 4, v[8:9]
	v_xor_b32_e32 v2, 0xff, v68
	s_delay_alu instid0(VALU_DEP_1) | instskip(NEXT) | instid1(VALU_DEP_3)
	v_lshl_add_u32 v31, v2, 4, v243
	v_add_co_u32 v23, s0, s1, v0
	s_delay_alu instid0(VALU_DEP_1)
	v_add_co_ci_u32_e64 v24, s0, s2, v1, s0
	s_clause 0x1
	global_load_b128 v[11:14], v[23:24], off offset:272
	global_load_b128 v[15:18], v[23:24], off offset:544
	ds_store_b64 v242, v[4:5]
	ds_store_b64 v10, v[6:7] offset:4352
	ds_load_b128 v[2:5], v31
	ds_load_b128 v[6:9], v242 offset:272
	ds_load_b128 v[19:22], v242 offset:544
	s_waitcnt lgkmcnt(1)
	v_add_f64 v[25:26], v[6:7], -v[2:3]
	v_add_f64 v[27:28], v[8:9], v[4:5]
	v_add_f64 v[4:5], v[8:9], -v[4:5]
	v_add_f64 v[2:3], v[6:7], v[2:3]
	s_delay_alu instid0(VALU_DEP_4) | instskip(NEXT) | instid1(VALU_DEP_4)
	v_mul_f64 v[8:9], v[25:26], 0.5
	v_mul_f64 v[25:26], v[27:28], 0.5
	s_delay_alu instid0(VALU_DEP_4) | instskip(SKIP_1) | instid1(VALU_DEP_3)
	v_mul_f64 v[4:5], v[4:5], 0.5
	s_waitcnt vmcnt(1)
	v_mul_f64 v[6:7], v[8:9], v[13:14]
	s_delay_alu instid0(VALU_DEP_2) | instskip(SKIP_1) | instid1(VALU_DEP_3)
	v_fma_f64 v[27:28], v[25:26], v[13:14], v[4:5]
	v_fma_f64 v[13:14], v[25:26], v[13:14], -v[4:5]
	v_fma_f64 v[29:30], v[2:3], 0.5, v[6:7]
	v_fma_f64 v[6:7], v[2:3], 0.5, -v[6:7]
	s_delay_alu instid0(VALU_DEP_4) | instskip(NEXT) | instid1(VALU_DEP_4)
	v_fma_f64 v[4:5], -v[11:12], v[8:9], v[27:28]
	v_fma_f64 v[8:9], -v[11:12], v[8:9], v[13:14]
	s_delay_alu instid0(VALU_DEP_4) | instskip(NEXT) | instid1(VALU_DEP_4)
	v_fma_f64 v[2:3], v[25:26], v[11:12], v[29:30]
	v_fma_f64 v[6:7], -v[25:26], v[11:12], v[6:7]
	global_load_b128 v[11:14], v[23:24], off offset:816
	ds_store_b128 v242, v[2:5] offset:272
	ds_store_b128 v31, v[6:9]
	ds_load_b128 v[2:5], v10 offset:3808
	s_waitcnt lgkmcnt(0)
	v_add_f64 v[6:7], v[19:20], -v[2:3]
	v_add_f64 v[8:9], v[21:22], v[4:5]
	v_add_f64 v[4:5], v[21:22], -v[4:5]
	v_add_f64 v[2:3], v[19:20], v[2:3]
	s_delay_alu instid0(VALU_DEP_4) | instskip(NEXT) | instid1(VALU_DEP_4)
	v_mul_f64 v[6:7], v[6:7], 0.5
	v_mul_f64 v[8:9], v[8:9], 0.5
	s_delay_alu instid0(VALU_DEP_4) | instskip(SKIP_1) | instid1(VALU_DEP_3)
	v_mul_f64 v[4:5], v[4:5], 0.5
	s_waitcnt vmcnt(1)
	v_mul_f64 v[19:20], v[6:7], v[17:18]
	s_delay_alu instid0(VALU_DEP_2) | instskip(SKIP_1) | instid1(VALU_DEP_3)
	v_fma_f64 v[21:22], v[8:9], v[17:18], v[4:5]
	v_fma_f64 v[4:5], v[8:9], v[17:18], -v[4:5]
	v_fma_f64 v[17:18], v[2:3], 0.5, v[19:20]
	v_fma_f64 v[2:3], v[2:3], 0.5, -v[19:20]
	s_delay_alu instid0(VALU_DEP_4) | instskip(NEXT) | instid1(VALU_DEP_4)
	v_fma_f64 v[19:20], -v[15:16], v[6:7], v[21:22]
	v_fma_f64 v[4:5], -v[15:16], v[6:7], v[4:5]
	s_delay_alu instid0(VALU_DEP_4) | instskip(NEXT) | instid1(VALU_DEP_4)
	v_fma_f64 v[17:18], v[8:9], v[15:16], v[17:18]
	v_fma_f64 v[2:3], -v[8:9], v[15:16], v[2:3]
	global_load_b128 v[6:9], v[23:24], off offset:1088
	ds_store_2addr_b64 v242, v[17:18], v[19:20] offset0:68 offset1:69
	ds_store_b128 v10, v[2:5] offset:3808
	ds_load_b128 v[2:5], v242 offset:816
	ds_load_b128 v[15:18], v10 offset:3536
	s_waitcnt lgkmcnt(0)
	v_add_f64 v[19:20], v[2:3], -v[15:16]
	v_add_f64 v[21:22], v[4:5], v[17:18]
	v_add_f64 v[4:5], v[4:5], -v[17:18]
	v_add_f64 v[2:3], v[2:3], v[15:16]
	s_delay_alu instid0(VALU_DEP_4) | instskip(NEXT) | instid1(VALU_DEP_4)
	v_mul_f64 v[17:18], v[19:20], 0.5
	v_mul_f64 v[19:20], v[21:22], 0.5
	s_delay_alu instid0(VALU_DEP_4) | instskip(SKIP_1) | instid1(VALU_DEP_3)
	v_mul_f64 v[4:5], v[4:5], 0.5
	s_waitcnt vmcnt(1)
	v_mul_f64 v[15:16], v[17:18], v[13:14]
	s_delay_alu instid0(VALU_DEP_2) | instskip(SKIP_1) | instid1(VALU_DEP_3)
	v_fma_f64 v[21:22], v[19:20], v[13:14], v[4:5]
	v_fma_f64 v[4:5], v[19:20], v[13:14], -v[4:5]
	v_fma_f64 v[13:14], v[2:3], 0.5, v[15:16]
	v_fma_f64 v[2:3], v[2:3], 0.5, -v[15:16]
	s_delay_alu instid0(VALU_DEP_4) | instskip(NEXT) | instid1(VALU_DEP_4)
	v_fma_f64 v[15:16], -v[11:12], v[17:18], v[21:22]
	v_fma_f64 v[4:5], -v[11:12], v[17:18], v[4:5]
	s_delay_alu instid0(VALU_DEP_4) | instskip(NEXT) | instid1(VALU_DEP_4)
	v_fma_f64 v[17:18], v[19:20], v[11:12], v[13:14]
	v_fma_f64 v[2:3], -v[19:20], v[11:12], v[2:3]
	global_load_b128 v[11:14], v[23:24], off offset:1360
	ds_store_2addr_b64 v242, v[17:18], v[15:16] offset0:102 offset1:103
	ds_store_b128 v10, v[2:5] offset:3536
	ds_load_b128 v[2:5], v242 offset:1088
	;; [unrolled: 28-line block ×4, first 2 shown]
	ds_load_b128 v[15:18], v10 offset:2720
	s_waitcnt lgkmcnt(0)
	v_add_f64 v[19:20], v[2:3], -v[15:16]
	v_add_f64 v[21:22], v[4:5], v[17:18]
	v_add_f64 v[4:5], v[4:5], -v[17:18]
	v_add_f64 v[2:3], v[2:3], v[15:16]
	s_delay_alu instid0(VALU_DEP_4) | instskip(NEXT) | instid1(VALU_DEP_4)
	v_mul_f64 v[17:18], v[19:20], 0.5
	v_mul_f64 v[19:20], v[21:22], 0.5
	s_delay_alu instid0(VALU_DEP_4) | instskip(SKIP_1) | instid1(VALU_DEP_3)
	v_mul_f64 v[4:5], v[4:5], 0.5
	s_waitcnt vmcnt(1)
	v_mul_f64 v[15:16], v[17:18], v[8:9]
	s_delay_alu instid0(VALU_DEP_2) | instskip(SKIP_1) | instid1(VALU_DEP_3)
	v_fma_f64 v[21:22], v[19:20], v[8:9], v[4:5]
	v_fma_f64 v[4:5], v[19:20], v[8:9], -v[4:5]
	v_fma_f64 v[8:9], v[2:3], 0.5, v[15:16]
	v_fma_f64 v[2:3], v[2:3], 0.5, -v[15:16]
	s_delay_alu instid0(VALU_DEP_4) | instskip(NEXT) | instid1(VALU_DEP_4)
	v_fma_f64 v[15:16], -v[6:7], v[17:18], v[21:22]
	v_fma_f64 v[4:5], -v[6:7], v[17:18], v[4:5]
	s_delay_alu instid0(VALU_DEP_4) | instskip(NEXT) | instid1(VALU_DEP_4)
	v_fma_f64 v[8:9], v[19:20], v[6:7], v[8:9]
	v_fma_f64 v[2:3], -v[19:20], v[6:7], v[2:3]
	ds_store_2addr_b64 v242, v[8:9], v[15:16] offset0:204 offset1:205
	ds_store_b128 v10, v[2:5] offset:2720
	ds_load_b128 v[2:5], v242 offset:1904
	ds_load_b128 v[6:9], v10 offset:2448
	s_waitcnt lgkmcnt(0)
	v_add_f64 v[15:16], v[2:3], -v[6:7]
	v_add_f64 v[17:18], v[4:5], v[8:9]
	v_add_f64 v[4:5], v[4:5], -v[8:9]
	v_add_f64 v[2:3], v[2:3], v[6:7]
	s_delay_alu instid0(VALU_DEP_4) | instskip(NEXT) | instid1(VALU_DEP_4)
	v_mul_f64 v[8:9], v[15:16], 0.5
	v_mul_f64 v[15:16], v[17:18], 0.5
	s_delay_alu instid0(VALU_DEP_4) | instskip(SKIP_1) | instid1(VALU_DEP_3)
	v_mul_f64 v[4:5], v[4:5], 0.5
	s_waitcnt vmcnt(0)
	v_mul_f64 v[6:7], v[8:9], v[13:14]
	s_delay_alu instid0(VALU_DEP_2) | instskip(SKIP_1) | instid1(VALU_DEP_3)
	v_fma_f64 v[17:18], v[15:16], v[13:14], v[4:5]
	v_fma_f64 v[4:5], v[15:16], v[13:14], -v[4:5]
	v_fma_f64 v[13:14], v[2:3], 0.5, v[6:7]
	v_fma_f64 v[2:3], v[2:3], 0.5, -v[6:7]
	s_delay_alu instid0(VALU_DEP_4) | instskip(NEXT) | instid1(VALU_DEP_4)
	v_fma_f64 v[6:7], -v[11:12], v[8:9], v[17:18]
	v_fma_f64 v[4:5], -v[11:12], v[8:9], v[4:5]
	s_delay_alu instid0(VALU_DEP_4) | instskip(NEXT) | instid1(VALU_DEP_4)
	v_fma_f64 v[8:9], v[15:16], v[11:12], v[13:14]
	v_fma_f64 v[2:3], -v[15:16], v[11:12], v[2:3]
	ds_store_2addr_b64 v242, v[8:9], v[6:7] offset0:238 offset1:239
	ds_store_b128 v10, v[2:5] offset:2448
	s_waitcnt lgkmcnt(0)
	s_barrier
	buffer_gl0_inv
	s_and_saveexec_b32 s0, vcc_lo
	s_cbranch_execz .LBB0_21
; %bb.19:
	ds_load_b128 v[4:7], v242
	ds_load_b128 v[8:11], v242 offset:272
	ds_load_b128 v[12:15], v242 offset:544
	;; [unrolled: 1-line block ×15, first 2 shown]
	v_add_co_u32 v2, vcc_lo, s8, v70
	v_add_co_ci_u32_e32 v3, vcc_lo, s9, v71, vcc_lo
	s_delay_alu instid0(VALU_DEP_2) | instskip(NEXT) | instid1(VALU_DEP_2)
	v_add_co_u32 v0, vcc_lo, v2, v0
	v_add_co_ci_u32_e32 v1, vcc_lo, v3, v1, vcc_lo
	v_cmp_eq_u32_e32 vcc_lo, 16, v68
	s_waitcnt lgkmcnt(15)
	global_store_b128 v[0:1], v[4:7], off
	s_waitcnt lgkmcnt(14)
	global_store_b128 v[0:1], v[8:11], off offset:272
	s_waitcnt lgkmcnt(13)
	global_store_b128 v[0:1], v[12:15], off offset:544
	;; [unrolled: 2-line block ×15, first 2 shown]
	s_and_b32 exec_lo, exec_lo, vcc_lo
	s_cbranch_execz .LBB0_21
; %bb.20:
	ds_load_b128 v[4:7], v242 offset:4096
	v_add_co_u32 v0, vcc_lo, 0x1000, v2
	v_add_co_ci_u32_e32 v1, vcc_lo, 0, v3, vcc_lo
	s_waitcnt lgkmcnt(0)
	global_store_b128 v[0:1], v[4:7], off offset:256
.LBB0_21:
	s_nop 0
	s_sendmsg sendmsg(MSG_DEALLOC_VGPRS)
	s_endpgm
	.section	.rodata,"a",@progbits
	.p2align	6, 0x0
	.amdhsa_kernel fft_rtc_back_len272_factors_16_17_wgs_119_tpt_17_halfLds_dp_ip_CI_unitstride_sbrr_R2C_dirReg
		.amdhsa_group_segment_fixed_size 0
		.amdhsa_private_segment_fixed_size 0
		.amdhsa_kernarg_size 88
		.amdhsa_user_sgpr_count 15
		.amdhsa_user_sgpr_dispatch_ptr 0
		.amdhsa_user_sgpr_queue_ptr 0
		.amdhsa_user_sgpr_kernarg_segment_ptr 1
		.amdhsa_user_sgpr_dispatch_id 0
		.amdhsa_user_sgpr_private_segment_size 0
		.amdhsa_wavefront_size32 1
		.amdhsa_uses_dynamic_stack 0
		.amdhsa_enable_private_segment 0
		.amdhsa_system_sgpr_workgroup_id_x 1
		.amdhsa_system_sgpr_workgroup_id_y 0
		.amdhsa_system_sgpr_workgroup_id_z 0
		.amdhsa_system_sgpr_workgroup_info 0
		.amdhsa_system_vgpr_workitem_id 0
		.amdhsa_next_free_vgpr 249
		.amdhsa_next_free_sgpr 52
		.amdhsa_reserve_vcc 1
		.amdhsa_float_round_mode_32 0
		.amdhsa_float_round_mode_16_64 0
		.amdhsa_float_denorm_mode_32 3
		.amdhsa_float_denorm_mode_16_64 3
		.amdhsa_dx10_clamp 1
		.amdhsa_ieee_mode 1
		.amdhsa_fp16_overflow 0
		.amdhsa_workgroup_processor_mode 1
		.amdhsa_memory_ordered 1
		.amdhsa_forward_progress 0
		.amdhsa_shared_vgpr_count 0
		.amdhsa_exception_fp_ieee_invalid_op 0
		.amdhsa_exception_fp_denorm_src 0
		.amdhsa_exception_fp_ieee_div_zero 0
		.amdhsa_exception_fp_ieee_overflow 0
		.amdhsa_exception_fp_ieee_underflow 0
		.amdhsa_exception_fp_ieee_inexact 0
		.amdhsa_exception_int_div_zero 0
	.end_amdhsa_kernel
	.text
.Lfunc_end0:
	.size	fft_rtc_back_len272_factors_16_17_wgs_119_tpt_17_halfLds_dp_ip_CI_unitstride_sbrr_R2C_dirReg, .Lfunc_end0-fft_rtc_back_len272_factors_16_17_wgs_119_tpt_17_halfLds_dp_ip_CI_unitstride_sbrr_R2C_dirReg
                                        ; -- End function
	.section	.AMDGPU.csdata,"",@progbits
; Kernel info:
; codeLenInByte = 13456
; NumSgprs: 54
; NumVgprs: 249
; ScratchSize: 0
; MemoryBound: 0
; FloatMode: 240
; IeeeMode: 1
; LDSByteSize: 0 bytes/workgroup (compile time only)
; SGPRBlocks: 6
; VGPRBlocks: 31
; NumSGPRsForWavesPerEU: 54
; NumVGPRsForWavesPerEU: 249
; Occupancy: 5
; WaveLimiterHint : 1
; COMPUTE_PGM_RSRC2:SCRATCH_EN: 0
; COMPUTE_PGM_RSRC2:USER_SGPR: 15
; COMPUTE_PGM_RSRC2:TRAP_HANDLER: 0
; COMPUTE_PGM_RSRC2:TGID_X_EN: 1
; COMPUTE_PGM_RSRC2:TGID_Y_EN: 0
; COMPUTE_PGM_RSRC2:TGID_Z_EN: 0
; COMPUTE_PGM_RSRC2:TIDIG_COMP_CNT: 0
	.text
	.p2alignl 7, 3214868480
	.fill 96, 4, 3214868480
	.type	__hip_cuid_1e68939a6a1121b,@object ; @__hip_cuid_1e68939a6a1121b
	.section	.bss,"aw",@nobits
	.globl	__hip_cuid_1e68939a6a1121b
__hip_cuid_1e68939a6a1121b:
	.byte	0                               ; 0x0
	.size	__hip_cuid_1e68939a6a1121b, 1

	.ident	"AMD clang version 19.0.0git (https://github.com/RadeonOpenCompute/llvm-project roc-6.4.0 25133 c7fe45cf4b819c5991fe208aaa96edf142730f1d)"
	.section	".note.GNU-stack","",@progbits
	.addrsig
	.addrsig_sym __hip_cuid_1e68939a6a1121b
	.amdgpu_metadata
---
amdhsa.kernels:
  - .args:
      - .actual_access:  read_only
        .address_space:  global
        .offset:         0
        .size:           8
        .value_kind:     global_buffer
      - .offset:         8
        .size:           8
        .value_kind:     by_value
      - .actual_access:  read_only
        .address_space:  global
        .offset:         16
        .size:           8
        .value_kind:     global_buffer
      - .actual_access:  read_only
        .address_space:  global
        .offset:         24
        .size:           8
        .value_kind:     global_buffer
      - .offset:         32
        .size:           8
        .value_kind:     by_value
      - .actual_access:  read_only
        .address_space:  global
        .offset:         40
        .size:           8
        .value_kind:     global_buffer
      - .actual_access:  read_only
        .address_space:  global
        .offset:         48
        .size:           8
        .value_kind:     global_buffer
      - .offset:         56
        .size:           4
        .value_kind:     by_value
      - .actual_access:  read_only
        .address_space:  global
        .offset:         64
        .size:           8
        .value_kind:     global_buffer
      - .actual_access:  read_only
        .address_space:  global
        .offset:         72
        .size:           8
        .value_kind:     global_buffer
      - .address_space:  global
        .offset:         80
        .size:           8
        .value_kind:     global_buffer
    .group_segment_fixed_size: 0
    .kernarg_segment_align: 8
    .kernarg_segment_size: 88
    .language:       OpenCL C
    .language_version:
      - 2
      - 0
    .max_flat_workgroup_size: 119
    .name:           fft_rtc_back_len272_factors_16_17_wgs_119_tpt_17_halfLds_dp_ip_CI_unitstride_sbrr_R2C_dirReg
    .private_segment_fixed_size: 0
    .sgpr_count:     54
    .sgpr_spill_count: 0
    .symbol:         fft_rtc_back_len272_factors_16_17_wgs_119_tpt_17_halfLds_dp_ip_CI_unitstride_sbrr_R2C_dirReg.kd
    .uniform_work_group_size: 1
    .uses_dynamic_stack: false
    .vgpr_count:     249
    .vgpr_spill_count: 0
    .wavefront_size: 32
    .workgroup_processor_mode: 1
amdhsa.target:   amdgcn-amd-amdhsa--gfx1100
amdhsa.version:
  - 1
  - 2
...

	.end_amdgpu_metadata
